;; amdgpu-corpus repo=ROCm/rocFFT kind=compiled arch=gfx1201 opt=O3
	.text
	.amdgcn_target "amdgcn-amd-amdhsa--gfx1201"
	.amdhsa_code_object_version 6
	.protected	fft_rtc_fwd_len3750_factors_3_5_5_10_5_wgs_125_tpt_125_halfLds_half_op_CI_CI_unitstride_sbrr_R2C_dirReg ; -- Begin function fft_rtc_fwd_len3750_factors_3_5_5_10_5_wgs_125_tpt_125_halfLds_half_op_CI_CI_unitstride_sbrr_R2C_dirReg
	.globl	fft_rtc_fwd_len3750_factors_3_5_5_10_5_wgs_125_tpt_125_halfLds_half_op_CI_CI_unitstride_sbrr_R2C_dirReg
	.p2align	8
	.type	fft_rtc_fwd_len3750_factors_3_5_5_10_5_wgs_125_tpt_125_halfLds_half_op_CI_CI_unitstride_sbrr_R2C_dirReg,@function
fft_rtc_fwd_len3750_factors_3_5_5_10_5_wgs_125_tpt_125_halfLds_half_op_CI_CI_unitstride_sbrr_R2C_dirReg: ; @fft_rtc_fwd_len3750_factors_3_5_5_10_5_wgs_125_tpt_125_halfLds_half_op_CI_CI_unitstride_sbrr_R2C_dirReg
; %bb.0:
	s_clause 0x2
	s_load_b128 s[8:11], s[0:1], 0x0
	s_load_b128 s[4:7], s[0:1], 0x58
	;; [unrolled: 1-line block ×3, first 2 shown]
	v_mul_u32_u24_e32 v1, 0x20d, v0
	v_mov_b32_e32 v3, 0
	s_delay_alu instid0(VALU_DEP_2) | instskip(NEXT) | instid1(VALU_DEP_1)
	v_lshrrev_b32_e32 v1, 16, v1
	v_add_nc_u32_e32 v5, ttmp9, v1
	v_mov_b32_e32 v1, 0
	v_mov_b32_e32 v2, 0
	;; [unrolled: 1-line block ×3, first 2 shown]
	s_wait_kmcnt 0x0
	v_cmp_lt_u64_e64 s2, s[10:11], 2
	s_delay_alu instid0(VALU_DEP_1)
	s_and_b32 vcc_lo, exec_lo, s2
	s_cbranch_vccnz .LBB0_8
; %bb.1:
	s_load_b64 s[2:3], s[0:1], 0x10
	v_mov_b32_e32 v1, 0
	v_mov_b32_e32 v2, 0
	s_add_nc_u64 s[16:17], s[14:15], 8
	s_add_nc_u64 s[18:19], s[12:13], 8
	s_mov_b64 s[20:21], 1
	s_delay_alu instid0(VALU_DEP_1)
	v_dual_mov_b32 v27, v2 :: v_dual_mov_b32 v26, v1
	s_wait_kmcnt 0x0
	s_add_nc_u64 s[22:23], s[2:3], 8
	s_mov_b32 s3, 0
.LBB0_2:                                ; =>This Inner Loop Header: Depth=1
	s_load_b64 s[24:25], s[22:23], 0x0
                                        ; implicit-def: $vgpr30_vgpr31
	s_mov_b32 s2, exec_lo
	s_wait_kmcnt 0x0
	v_or_b32_e32 v4, s25, v6
	s_delay_alu instid0(VALU_DEP_1)
	v_cmpx_ne_u64_e32 0, v[3:4]
	s_wait_alu 0xfffe
	s_xor_b32 s26, exec_lo, s2
	s_cbranch_execz .LBB0_4
; %bb.3:                                ;   in Loop: Header=BB0_2 Depth=1
	s_cvt_f32_u32 s2, s24
	s_cvt_f32_u32 s27, s25
	s_sub_nc_u64 s[30:31], 0, s[24:25]
	s_wait_alu 0xfffe
	s_delay_alu instid0(SALU_CYCLE_1) | instskip(SKIP_1) | instid1(SALU_CYCLE_2)
	s_fmamk_f32 s2, s27, 0x4f800000, s2
	s_wait_alu 0xfffe
	v_s_rcp_f32 s2, s2
	s_delay_alu instid0(TRANS32_DEP_1) | instskip(SKIP_1) | instid1(SALU_CYCLE_2)
	s_mul_f32 s2, s2, 0x5f7ffffc
	s_wait_alu 0xfffe
	s_mul_f32 s27, s2, 0x2f800000
	s_wait_alu 0xfffe
	s_delay_alu instid0(SALU_CYCLE_2) | instskip(SKIP_1) | instid1(SALU_CYCLE_2)
	s_trunc_f32 s27, s27
	s_wait_alu 0xfffe
	s_fmamk_f32 s2, s27, 0xcf800000, s2
	s_cvt_u32_f32 s29, s27
	s_wait_alu 0xfffe
	s_delay_alu instid0(SALU_CYCLE_1) | instskip(SKIP_1) | instid1(SALU_CYCLE_2)
	s_cvt_u32_f32 s28, s2
	s_wait_alu 0xfffe
	s_mul_u64 s[34:35], s[30:31], s[28:29]
	s_wait_alu 0xfffe
	s_mul_hi_u32 s37, s28, s35
	s_mul_i32 s36, s28, s35
	s_mul_hi_u32 s2, s28, s34
	s_mul_i32 s33, s29, s34
	s_wait_alu 0xfffe
	s_add_nc_u64 s[36:37], s[2:3], s[36:37]
	s_mul_hi_u32 s27, s29, s34
	s_mul_hi_u32 s38, s29, s35
	s_add_co_u32 s2, s36, s33
	s_wait_alu 0xfffe
	s_add_co_ci_u32 s2, s37, s27
	s_mul_i32 s34, s29, s35
	s_add_co_ci_u32 s35, s38, 0
	s_wait_alu 0xfffe
	s_add_nc_u64 s[34:35], s[2:3], s[34:35]
	s_wait_alu 0xfffe
	v_add_co_u32 v4, s2, s28, s34
	s_delay_alu instid0(VALU_DEP_1) | instskip(SKIP_1) | instid1(VALU_DEP_1)
	s_cmp_lg_u32 s2, 0
	s_add_co_ci_u32 s29, s29, s35
	v_readfirstlane_b32 s28, v4
	s_wait_alu 0xfffe
	s_delay_alu instid0(VALU_DEP_1)
	s_mul_u64 s[30:31], s[30:31], s[28:29]
	s_wait_alu 0xfffe
	s_mul_hi_u32 s35, s28, s31
	s_mul_i32 s34, s28, s31
	s_mul_hi_u32 s2, s28, s30
	s_mul_i32 s33, s29, s30
	s_wait_alu 0xfffe
	s_add_nc_u64 s[34:35], s[2:3], s[34:35]
	s_mul_hi_u32 s27, s29, s30
	s_mul_hi_u32 s28, s29, s31
	s_wait_alu 0xfffe
	s_add_co_u32 s2, s34, s33
	s_add_co_ci_u32 s2, s35, s27
	s_mul_i32 s30, s29, s31
	s_add_co_ci_u32 s31, s28, 0
	s_wait_alu 0xfffe
	s_add_nc_u64 s[30:31], s[2:3], s[30:31]
	s_wait_alu 0xfffe
	v_add_co_u32 v4, s2, v4, s30
	s_delay_alu instid0(VALU_DEP_1) | instskip(SKIP_1) | instid1(VALU_DEP_1)
	s_cmp_lg_u32 s2, 0
	s_add_co_ci_u32 s2, s29, s31
	v_mul_hi_u32 v13, v5, v4
	s_wait_alu 0xfffe
	v_mad_co_u64_u32 v[7:8], null, v5, s2, 0
	v_mad_co_u64_u32 v[9:10], null, v6, v4, 0
	;; [unrolled: 1-line block ×3, first 2 shown]
	s_delay_alu instid0(VALU_DEP_3) | instskip(SKIP_1) | instid1(VALU_DEP_4)
	v_add_co_u32 v4, vcc_lo, v13, v7
	s_wait_alu 0xfffd
	v_add_co_ci_u32_e32 v7, vcc_lo, 0, v8, vcc_lo
	s_delay_alu instid0(VALU_DEP_2) | instskip(SKIP_1) | instid1(VALU_DEP_2)
	v_add_co_u32 v4, vcc_lo, v4, v9
	s_wait_alu 0xfffd
	v_add_co_ci_u32_e32 v4, vcc_lo, v7, v10, vcc_lo
	s_wait_alu 0xfffd
	v_add_co_ci_u32_e32 v7, vcc_lo, 0, v12, vcc_lo
	s_delay_alu instid0(VALU_DEP_2) | instskip(SKIP_1) | instid1(VALU_DEP_2)
	v_add_co_u32 v4, vcc_lo, v4, v11
	s_wait_alu 0xfffd
	v_add_co_ci_u32_e32 v9, vcc_lo, 0, v7, vcc_lo
	s_delay_alu instid0(VALU_DEP_2) | instskip(SKIP_1) | instid1(VALU_DEP_3)
	v_mul_lo_u32 v10, s25, v4
	v_mad_co_u64_u32 v[7:8], null, s24, v4, 0
	v_mul_lo_u32 v11, s24, v9
	s_delay_alu instid0(VALU_DEP_2) | instskip(NEXT) | instid1(VALU_DEP_2)
	v_sub_co_u32 v7, vcc_lo, v5, v7
	v_add3_u32 v8, v8, v11, v10
	s_delay_alu instid0(VALU_DEP_1) | instskip(SKIP_1) | instid1(VALU_DEP_1)
	v_sub_nc_u32_e32 v10, v6, v8
	s_wait_alu 0xfffd
	v_subrev_co_ci_u32_e64 v10, s2, s25, v10, vcc_lo
	v_add_co_u32 v11, s2, v4, 2
	s_wait_alu 0xf1ff
	v_add_co_ci_u32_e64 v12, s2, 0, v9, s2
	v_sub_co_u32 v13, s2, v7, s24
	v_sub_co_ci_u32_e32 v8, vcc_lo, v6, v8, vcc_lo
	s_wait_alu 0xf1ff
	v_subrev_co_ci_u32_e64 v10, s2, 0, v10, s2
	s_delay_alu instid0(VALU_DEP_3) | instskip(NEXT) | instid1(VALU_DEP_3)
	v_cmp_le_u32_e32 vcc_lo, s24, v13
	v_cmp_eq_u32_e64 s2, s25, v8
	s_wait_alu 0xfffd
	v_cndmask_b32_e64 v13, 0, -1, vcc_lo
	v_cmp_le_u32_e32 vcc_lo, s25, v10
	s_wait_alu 0xfffd
	v_cndmask_b32_e64 v14, 0, -1, vcc_lo
	v_cmp_le_u32_e32 vcc_lo, s24, v7
	;; [unrolled: 3-line block ×3, first 2 shown]
	s_wait_alu 0xfffd
	v_cndmask_b32_e64 v15, 0, -1, vcc_lo
	v_cmp_eq_u32_e32 vcc_lo, s25, v10
	s_wait_alu 0xf1ff
	s_delay_alu instid0(VALU_DEP_2)
	v_cndmask_b32_e64 v7, v15, v7, s2
	s_wait_alu 0xfffd
	v_cndmask_b32_e32 v10, v14, v13, vcc_lo
	v_add_co_u32 v13, vcc_lo, v4, 1
	s_wait_alu 0xfffd
	v_add_co_ci_u32_e32 v14, vcc_lo, 0, v9, vcc_lo
	s_delay_alu instid0(VALU_DEP_3) | instskip(SKIP_1) | instid1(VALU_DEP_2)
	v_cmp_ne_u32_e32 vcc_lo, 0, v10
	s_wait_alu 0xfffd
	v_cndmask_b32_e32 v8, v14, v12, vcc_lo
	v_cndmask_b32_e32 v10, v13, v11, vcc_lo
	v_cmp_ne_u32_e32 vcc_lo, 0, v7
	s_wait_alu 0xfffd
	s_delay_alu instid0(VALU_DEP_2)
	v_dual_cndmask_b32 v31, v9, v8 :: v_dual_cndmask_b32 v30, v4, v10
.LBB0_4:                                ;   in Loop: Header=BB0_2 Depth=1
	s_wait_alu 0xfffe
	s_and_not1_saveexec_b32 s2, s26
	s_cbranch_execz .LBB0_6
; %bb.5:                                ;   in Loop: Header=BB0_2 Depth=1
	v_cvt_f32_u32_e32 v4, s24
	s_sub_co_i32 s26, 0, s24
	v_mov_b32_e32 v31, v3
	s_delay_alu instid0(VALU_DEP_2) | instskip(NEXT) | instid1(TRANS32_DEP_1)
	v_rcp_iflag_f32_e32 v4, v4
	v_mul_f32_e32 v4, 0x4f7ffffe, v4
	s_delay_alu instid0(VALU_DEP_1) | instskip(SKIP_1) | instid1(VALU_DEP_1)
	v_cvt_u32_f32_e32 v4, v4
	s_wait_alu 0xfffe
	v_mul_lo_u32 v7, s26, v4
	s_delay_alu instid0(VALU_DEP_1) | instskip(NEXT) | instid1(VALU_DEP_1)
	v_mul_hi_u32 v7, v4, v7
	v_add_nc_u32_e32 v4, v4, v7
	s_delay_alu instid0(VALU_DEP_1) | instskip(NEXT) | instid1(VALU_DEP_1)
	v_mul_hi_u32 v4, v5, v4
	v_mul_lo_u32 v7, v4, s24
	v_add_nc_u32_e32 v8, 1, v4
	s_delay_alu instid0(VALU_DEP_2) | instskip(NEXT) | instid1(VALU_DEP_1)
	v_sub_nc_u32_e32 v7, v5, v7
	v_subrev_nc_u32_e32 v9, s24, v7
	v_cmp_le_u32_e32 vcc_lo, s24, v7
	s_wait_alu 0xfffd
	s_delay_alu instid0(VALU_DEP_2) | instskip(NEXT) | instid1(VALU_DEP_1)
	v_dual_cndmask_b32 v7, v7, v9 :: v_dual_cndmask_b32 v4, v4, v8
	v_cmp_le_u32_e32 vcc_lo, s24, v7
	s_delay_alu instid0(VALU_DEP_2) | instskip(SKIP_1) | instid1(VALU_DEP_1)
	v_add_nc_u32_e32 v8, 1, v4
	s_wait_alu 0xfffd
	v_cndmask_b32_e32 v30, v4, v8, vcc_lo
.LBB0_6:                                ;   in Loop: Header=BB0_2 Depth=1
	s_wait_alu 0xfffe
	s_or_b32 exec_lo, exec_lo, s2
	v_mul_lo_u32 v4, v31, s24
	s_delay_alu instid0(VALU_DEP_2)
	v_mul_lo_u32 v9, v30, s25
	s_load_b64 s[26:27], s[18:19], 0x0
	v_mad_co_u64_u32 v[7:8], null, v30, s24, 0
	s_load_b64 s[24:25], s[16:17], 0x0
	s_add_nc_u64 s[20:21], s[20:21], 1
	s_add_nc_u64 s[16:17], s[16:17], 8
	s_wait_alu 0xfffe
	v_cmp_ge_u64_e64 s2, s[20:21], s[10:11]
	s_add_nc_u64 s[18:19], s[18:19], 8
	s_add_nc_u64 s[22:23], s[22:23], 8
	v_add3_u32 v4, v8, v9, v4
	v_sub_co_u32 v5, vcc_lo, v5, v7
	s_wait_alu 0xfffd
	s_delay_alu instid0(VALU_DEP_2) | instskip(SKIP_2) | instid1(VALU_DEP_1)
	v_sub_co_ci_u32_e32 v4, vcc_lo, v6, v4, vcc_lo
	s_and_b32 vcc_lo, exec_lo, s2
	s_wait_kmcnt 0x0
	v_mul_lo_u32 v6, s26, v4
	v_mul_lo_u32 v7, s27, v5
	v_mad_co_u64_u32 v[1:2], null, s26, v5, v[1:2]
	v_mul_lo_u32 v4, s24, v4
	v_mul_lo_u32 v8, s25, v5
	v_mad_co_u64_u32 v[26:27], null, s24, v5, v[26:27]
	s_delay_alu instid0(VALU_DEP_4) | instskip(NEXT) | instid1(VALU_DEP_2)
	v_add3_u32 v2, v7, v2, v6
	v_add3_u32 v27, v8, v27, v4
	s_wait_alu 0xfffe
	s_cbranch_vccnz .LBB0_9
; %bb.7:                                ;   in Loop: Header=BB0_2 Depth=1
	v_dual_mov_b32 v5, v30 :: v_dual_mov_b32 v6, v31
	s_branch .LBB0_2
.LBB0_8:
	v_dual_mov_b32 v27, v2 :: v_dual_mov_b32 v26, v1
	v_dual_mov_b32 v31, v6 :: v_dual_mov_b32 v30, v5
.LBB0_9:
	s_load_b64 s[0:1], s[0:1], 0x28
	v_mul_hi_u32 v3, 0x20c49bb, v0
	s_lshl_b64 s[10:11], s[10:11], 3
                                        ; implicit-def: $vgpr24
                                        ; implicit-def: $vgpr28
                                        ; implicit-def: $vgpr37
                                        ; implicit-def: $vgpr36
                                        ; implicit-def: $vgpr35
                                        ; implicit-def: $vgpr34
                                        ; implicit-def: $vgpr33
                                        ; implicit-def: $vgpr32
	s_wait_kmcnt 0x0
	v_cmp_gt_u64_e32 vcc_lo, s[0:1], v[30:31]
	v_cmp_le_u64_e64 s0, s[0:1], v[30:31]
	s_delay_alu instid0(VALU_DEP_1)
	s_and_saveexec_b32 s1, s0
	s_wait_alu 0xfffe
	s_xor_b32 s0, exec_lo, s1
; %bb.10:
	v_mul_u32_u24_e32 v1, 0x7d, v3
                                        ; implicit-def: $vgpr3
	s_delay_alu instid0(VALU_DEP_1) | instskip(NEXT) | instid1(VALU_DEP_1)
	v_sub_nc_u32_e32 v24, v0, v1
                                        ; implicit-def: $vgpr0
                                        ; implicit-def: $vgpr1_vgpr2
	v_add_nc_u32_e32 v28, 0x7d, v24
	v_add_nc_u32_e32 v37, 0xfa, v24
	;; [unrolled: 1-line block ×7, first 2 shown]
; %bb.11:
	s_wait_alu 0xfffe
	s_or_saveexec_b32 s1, s0
	s_add_nc_u64 s[2:3], s[14:15], s[10:11]
	s_wait_alu 0xfffe
	s_xor_b32 exec_lo, exec_lo, s1
	s_cbranch_execz .LBB0_13
; %bb.12:
	s_add_nc_u64 s[10:11], s[12:13], s[10:11]
	v_lshlrev_b64_e32 v[1:2], 2, v[1:2]
	s_load_b64 s[10:11], s[10:11], 0x0
	s_wait_kmcnt 0x0
	v_mul_lo_u32 v6, s11, v30
	v_mul_lo_u32 v7, s10, v31
	v_mad_co_u64_u32 v[4:5], null, s10, v30, 0
	s_delay_alu instid0(VALU_DEP_1) | instskip(SKIP_1) | instid1(VALU_DEP_2)
	v_add3_u32 v5, v5, v7, v6
	v_mul_u32_u24_e32 v6, 0x7d, v3
	v_lshlrev_b64_e32 v[3:4], 2, v[4:5]
	s_delay_alu instid0(VALU_DEP_2) | instskip(NEXT) | instid1(VALU_DEP_1)
	v_sub_nc_u32_e32 v24, v0, v6
	v_add_nc_u32_e32 v28, 0x7d, v24
	s_delay_alu instid0(VALU_DEP_3) | instskip(SKIP_1) | instid1(VALU_DEP_4)
	v_add_co_u32 v0, s0, s4, v3
	s_wait_alu 0xf1ff
	v_add_co_ci_u32_e64 v3, s0, s5, v4, s0
	v_lshlrev_b32_e32 v4, 2, v24
	s_delay_alu instid0(VALU_DEP_3) | instskip(SKIP_1) | instid1(VALU_DEP_3)
	v_add_co_u32 v0, s0, v0, v1
	s_wait_alu 0xf1ff
	v_add_co_ci_u32_e64 v1, s0, v3, v2, s0
	v_add_nc_u32_e32 v37, 0xfa, v24
	s_delay_alu instid0(VALU_DEP_3) | instskip(SKIP_1) | instid1(VALU_DEP_3)
	v_add_co_u32 v0, s0, v0, v4
	s_wait_alu 0xf1ff
	v_add_co_ci_u32_e64 v1, s0, 0, v1, s0
	s_clause 0x1d
	global_load_b32 v2, v[0:1], off
	global_load_b32 v3, v[0:1], off offset:500
	global_load_b32 v5, v[0:1], off offset:1000
	;; [unrolled: 1-line block ×29, first 2 shown]
	v_add_nc_u32_e32 v1, 0, v4
	v_add_nc_u32_e32 v36, 0x177, v24
	;; [unrolled: 1-line block ×20, first 2 shown]
	s_wait_loadcnt 0x1c
	ds_store_2addr_b32 v1, v2, v3 offset1:125
	s_wait_loadcnt 0x1a
	ds_store_2addr_b32 v4, v5, v6 offset0:122 offset1:247
	s_wait_loadcnt 0x18
	ds_store_2addr_b32 v44, v7, v8 offset0:116 offset1:241
	;; [unrolled: 2-line block ×14, first 2 shown]
.LBB0_13:
	s_or_b32 exec_lo, exec_lo, s1
	v_lshlrev_b32_e32 v38, 2, v24
	s_load_b64 s[2:3], s[2:3], 0x0
	global_wb scope:SCOPE_SE
	s_wait_dscnt 0x0
	s_wait_kmcnt 0x0
	s_barrier_signal -1
	s_barrier_wait -1
	v_add_nc_u32_e32 v43, 0, v38
	global_inv scope:SCOPE_SE
	v_mad_u32_u24 v25, v24, 12, 0
	v_mad_i32_i24 v49, v28, 12, 0
	v_mad_i32_i24 v48, v37, 12, 0
	v_add_nc_u32_e32 v64, 0x1200, v43
	v_add_nc_u32_e32 v62, 0x2600, v43
	;; [unrolled: 1-line block ×5, first 2 shown]
	ds_load_2addr_b32 v[0:1], v64 offset0:98 offset1:223
	ds_load_2addr_b32 v[2:3], v62 offset0:68 offset1:193
	;; [unrolled: 1-line block ×4, first 2 shown]
	ds_load_2addr_b32 v[8:9], v43 offset1:125
	v_add_nc_u32_e32 v60, 0x3200, v43
	v_add_nc_u32_e32 v59, 0x3600, v43
	ds_load_2addr_b32 v[10:11], v61 offset0:80 offset1:205
	ds_load_2addr_b32 v[12:13], v60 offset0:50 offset1:175
	;; [unrolled: 1-line block ×3, first 2 shown]
	v_add_nc_u32_e32 v16, 0xa00, v43
	v_add_nc_u32_e32 v68, 0x600, v43
	;; [unrolled: 1-line block ×6, first 2 shown]
	ds_load_2addr_b32 v[16:17], v16 offset0:110 offset1:235
	v_add_nc_u32_e32 v66, 0x2e00, v43
	v_mad_i32_i24 v47, v36, 12, 0
	v_mad_i32_i24 v46, v35, 12, 0
	v_and_b32_e32 v81, 0xff, v28
	v_mad_i32_i24 v45, v34, 12, 0
	s_wait_dscnt 0x7
	v_pk_add_f16 v18, v0, v2
	v_pk_add_f16 v19, v0, v2 neg_lo:[0,1] neg_hi:[0,1]
	s_wait_dscnt 0x5
	v_pk_add_f16 v20, v5, v7
	s_wait_dscnt 0x4
	v_pk_add_f16 v0, v8, v0
	v_pk_add_f16 v72, v9, v1
	v_pk_fma_f16 v18, v18, 0.5, v8 op_sel_hi:[1,0,1] neg_lo:[1,0,0] neg_hi:[1,0,0]
	v_pk_mul_f16 v19, 0x3aee, v19 op_sel_hi:[0,1]
	s_wait_dscnt 0x1
	v_pk_add_f16 v56, v20, v15
	v_pk_add_f16 v50, v11, v13 neg_lo:[0,1] neg_hi:[0,1]
	v_pk_add_f16 v0, v0, v2
	v_pk_add_f16 v73, v1, v3
	v_pk_add_f16 v42, v18, v19 op_sel:[0,1] op_sel_hi:[1,0]
	v_pk_add_f16 v57, v18, v19 op_sel:[0,1] op_sel_hi:[1,0] neg_lo:[0,1] neg_hi:[0,1]
	ds_load_2addr_b32 v[18:19], v68 offset0:116 offset1:241
	ds_load_2addr_b32 v[20:21], v67 offset0:86 offset1:211
	;; [unrolled: 1-line block ×5, first 2 shown]
	v_pk_mul_f16 v58, 0x3aee, v50 op_sel_hi:[0,1]
	ds_load_2addr_b32 v[50:51], v66 offset0:56 offset1:181
	v_bfi_b32 v2, 0xffff, v42, v57
	v_pk_add_f16 v1, v1, v3 neg_lo:[0,1] neg_hi:[0,1]
	v_bfi_b32 v42, 0xffff, v57, v42
	v_pk_add_f16 v72, v72, v3
	global_wb scope:SCOPE_SE
	s_wait_dscnt 0x0
	s_barrier_signal -1
	s_barrier_wait -1
	v_pk_fma_f16 v3, v73, 0.5, v9 op_sel_hi:[1,0,1] neg_lo:[1,0,0] neg_hi:[1,0,0]
	v_pk_mul_f16 v1, 0x3aee, v1 op_sel_hi:[0,1]
	global_inv scope:SCOPE_SE
	ds_store_2addr_b32 v25, v0, v2 offset1:1
	ds_store_b32 v25, v42 offset:8
	v_pk_add_f16 v8, v11, v13
	v_pk_add_f16 v11, v17, v11
	v_pk_add_f16 v0, v3, v1 op_sel:[0,1] op_sel_hi:[1,0]
	v_pk_add_f16 v1, v3, v1 op_sel:[0,1] op_sel_hi:[1,0] neg_lo:[0,1] neg_hi:[0,1]
	v_pk_add_f16 v69, v18, v20
	v_pk_add_f16 v71, v22, v39
	;; [unrolled: 1-line block ×3, first 2 shown]
	v_pk_add_f16 v2, v39, v52 neg_lo:[0,1] neg_hi:[0,1]
	v_bfi_b32 v39, 0xffff, v0, v1
	v_bfi_b32 v0, 0xffff, v1, v0
	v_pk_add_f16 v70, v23, v40
	v_pk_fma_f16 v3, v9, 0.5, v22 op_sel_hi:[1,0,1] neg_lo:[1,0,0] neg_hi:[1,0,0]
	v_pk_add_f16 v9, v40, v53
	v_pk_add_f16 v22, v40, v53 neg_lo:[0,1] neg_hi:[0,1]
	v_pk_mul_f16 v2, 0x3aee, v2 op_sel_hi:[0,1]
	v_pk_add_f16 v71, v71, v52
	ds_store_2addr_b32 v49, v72, v39 offset1:1
	ds_store_b32 v49, v0 offset:8
	v_pk_fma_f16 v1, v9, 0.5, v23 op_sel_hi:[1,0,1] neg_lo:[1,0,0] neg_hi:[1,0,0]
	v_pk_mul_f16 v9, 0x3aee, v22 op_sel_hi:[0,1]
	v_pk_add_f16 v22, v3, v2 op_sel:[0,1] op_sel_hi:[1,0]
	v_pk_add_f16 v2, v3, v2 op_sel:[0,1] op_sel_hi:[1,0] neg_lo:[0,1] neg_hi:[0,1]
	v_pk_fma_f16 v8, v8, 0.5, v17 op_sel_hi:[1,0,1] neg_lo:[1,0,0] neg_hi:[1,0,0]
	v_pk_add_f16 v70, v70, v53
	v_pk_add_f16 v0, v1, v9 op_sel:[0,1] op_sel_hi:[1,0]
	v_pk_add_f16 v1, v1, v9 op_sel:[0,1] op_sel_hi:[1,0] neg_lo:[0,1] neg_hi:[0,1]
	v_bfi_b32 v3, 0xffff, v22, v2
	v_pk_add_f16 v9, v20, v50
	v_pk_add_f16 v20, v20, v50 neg_lo:[0,1] neg_hi:[0,1]
	v_bfi_b32 v2, 0xffff, v2, v22
	v_bfi_b32 v22, 0xffff, v0, v1
	;; [unrolled: 1-line block ×3, first 2 shown]
	v_pk_fma_f16 v1, v9, 0.5, v18 op_sel_hi:[1,0,1] neg_lo:[1,0,0] neg_hi:[1,0,0]
	v_pk_mul_f16 v9, 0x3aee, v20 op_sel_hi:[0,1]
	ds_store_2addr_b32 v48, v71, v3 offset1:1
	ds_store_b32 v48, v2 offset:8
	v_pk_add_f16 v2, v21, v51
	v_pk_add_f16 v3, v21, v51 neg_lo:[0,1] neg_hi:[0,1]
	v_pk_add_f16 v17, v8, v58 op_sel:[0,1] op_sel_hi:[1,0]
	v_pk_add_f16 v8, v8, v58 op_sel:[0,1] op_sel_hi:[1,0] neg_lo:[0,1] neg_hi:[0,1]
	v_pk_add_f16 v57, v4, v6
	v_pk_add_f16 v58, v16, v10
	ds_store_2addr_b32 v47, v70, v22 offset1:1
	ds_store_b32 v47, v0 offset:8
	v_pk_add_f16 v0, v1, v9 op_sel:[0,1] op_sel_hi:[1,0]
	v_pk_add_f16 v1, v1, v9 op_sel:[0,1] op_sel_hi:[1,0] neg_lo:[0,1] neg_hi:[0,1]
	v_pk_fma_f16 v2, v2, 0.5, v19 op_sel_hi:[1,0,1] neg_lo:[1,0,0] neg_hi:[1,0,0]
	v_pk_add_f16 v9, v10, v12
	v_pk_add_f16 v10, v10, v12 neg_lo:[0,1] neg_hi:[0,1]
	v_pk_mul_f16 v3, 0x3aee, v3 op_sel_hi:[0,1]
	v_pk_add_f16 v11, v11, v13
	v_bfi_b32 v13, 0xffff, v17, v8
	v_bfi_b32 v8, 0xffff, v8, v17
	v_pk_add_f16 v17, v57, v14
	v_pk_add_f16 v57, v58, v12
	v_pk_add_f16 v69, v69, v50
	v_bfi_b32 v12, 0xffff, v0, v1
	v_bfi_b32 v0, 0xffff, v1, v0
	v_pk_fma_f16 v1, v9, 0.5, v16 op_sel_hi:[1,0,1] neg_lo:[1,0,0] neg_hi:[1,0,0]
	v_pk_mul_f16 v9, 0x3aee, v10 op_sel_hi:[0,1]
	v_pk_add_f16 v10, v2, v3 op_sel:[0,1] op_sel_hi:[1,0]
	v_pk_add_f16 v2, v2, v3 op_sel:[0,1] op_sel_hi:[1,0] neg_lo:[0,1] neg_hi:[0,1]
	v_pk_add_f16 v3, v6, v14
	v_pk_add_f16 v6, v6, v14 neg_lo:[0,1] neg_hi:[0,1]
	v_pk_add_f16 v58, v19, v21
	ds_store_2addr_b32 v46, v69, v12 offset1:1
	ds_store_b32 v46, v0 offset:8
	v_pk_add_f16 v0, v1, v9 op_sel:[0,1] op_sel_hi:[1,0]
	v_pk_add_f16 v1, v1, v9 op_sel:[0,1] op_sel_hi:[1,0] neg_lo:[0,1] neg_hi:[0,1]
	v_pk_fma_f16 v3, v3, 0.5, v4 op_sel_hi:[1,0,1] neg_lo:[1,0,0] neg_hi:[1,0,0]
	v_pk_mul_f16 v4, 0x3aee, v6 op_sel_hi:[0,1]
	v_mul_lo_u16 v6, 0xab, v81
	v_pk_add_f16 v58, v58, v51
	v_bfi_b32 v9, 0xffff, v10, v2
	v_bfi_b32 v2, 0xffff, v2, v10
	v_mad_i32_i24 v44, v33, 12, 0
	v_bfi_b32 v10, 0xffff, v0, v1
	v_and_b32_e32 v42, 0xffff, v37
	v_lshrrev_b16 v92, 9, v6
	v_bfi_b32 v0, 0xffff, v1, v0
	ds_store_2addr_b32 v45, v58, v9 offset1:1
	ds_store_b32 v45, v2 offset:8
	v_pk_add_f16 v2, v7, v15
	v_pk_add_f16 v7, v7, v15 neg_lo:[0,1] neg_hi:[0,1]
	v_pk_add_f16 v1, v3, v4 op_sel:[0,1] op_sel_hi:[1,0]
	v_pk_add_f16 v3, v3, v4 op_sel:[0,1] op_sel_hi:[1,0] neg_lo:[0,1] neg_hi:[0,1]
	ds_store_2addr_b32 v44, v57, v10 offset1:1
	ds_store_b32 v44, v0 offset:8
	v_mul_u32_u24_e32 v0, 0xaaab, v42
	v_mul_lo_u16 v6, v92, 3
	v_pk_fma_f16 v2, v2, 0.5, v5 op_sel_hi:[1,0,1] neg_lo:[1,0,0] neg_hi:[1,0,0]
	v_pk_mul_f16 v4, 0x3aee, v7 op_sel_hi:[0,1]
	v_bfi_b32 v5, 0xffff, v1, v3
	v_lshrrev_b32_e32 v88, 17, v0
	v_bfi_b32 v0, 0xffff, v3, v1
	v_sub_nc_u16 v1, v28, v6
	v_pk_add_f16 v7, v2, v4 op_sel:[0,1] op_sel_hi:[1,0]
	v_pk_add_f16 v2, v2, v4 op_sel:[0,1] op_sel_hi:[1,0] neg_lo:[0,1] neg_hi:[0,1]
	v_add_nc_u32_e32 v55, 0x2ee0, v25
	v_and_b32_e32 v82, 0xffff, v36
	v_and_b32_e32 v93, 0xff, v1
	v_add_nc_u32_e32 v54, 0x2904, v25
	v_mad_i32_i24 v29, v32, 12, 0
	v_bfi_b32 v3, 0xffff, v7, v2
	v_bfi_b32 v2, 0xffff, v2, v7
	ds_store_b32 v25, v8 offset:10508
	v_mul_lo_u16 v4, v88, 3
	ds_store_2addr_b32 v55, v17, v5 offset1:1
	ds_store_2addr_b32 v54, v11, v13 offset1:1
	ds_store_b32 v25, v0 offset:12008
	ds_store_2addr_b32 v29, v56, v3 offset1:1
	ds_store_b32 v29, v2 offset:8
	v_lshlrev_b32_e32 v0, 4, v93
	v_mul_u32_u24_e32 v8, 0xaaab, v82
	global_wb scope:SCOPE_SE
	s_wait_dscnt 0x0
	s_barrier_signal -1
	s_barrier_wait -1
	global_inv scope:SCOPE_SE
	global_load_b128 v[0:3], v0, s[8:9]
	v_sub_nc_u16 v4, v37, v4
	v_and_b32_e32 v39, 0xffff, v35
	v_lshrrev_b32_e32 v87, 17, v8
	v_and_b32_e32 v40, 0xff, v24
	v_and_b32_e32 v83, 0xffff, v34
	;; [unrolled: 1-line block ×3, first 2 shown]
	v_mul_u32_u24_e32 v8, 0xaaab, v39
	v_mul_lo_u16 v9, v87, 3
	v_mul_lo_u16 v16, 0xab, v40
	v_mul_u32_u24_e32 v17, 0xaaab, v83
	v_lshlrev_b32_e32 v4, 4, v89
	v_lshrrev_b32_e32 v84, 17, v8
	v_sub_nc_u16 v8, v36, v9
	v_lshrrev_b16 v94, 9, v16
	v_lshrrev_b32_e32 v86, 17, v17
	global_load_b128 v[4:7], v4, s[8:9]
	v_mul_lo_u16 v9, v84, 3
	v_and_b32_e32 v90, 0xffff, v8
	v_mul_lo_u16 v16, v94, 3
	v_mul_lo_u16 v17, v86, 3
	v_add_nc_u32_e32 v77, 0xc00, v43
	v_sub_nc_u16 v8, v35, v9
	v_lshlrev_b32_e32 v9, 4, v90
	v_sub_nc_u16 v16, v24, v16
	v_add_nc_u32_e32 v78, 0x1800, v43
	v_add_nc_u32_e32 v79, 0x2400, v43
	v_and_b32_e32 v85, 0xffff, v8
	global_load_b128 v[12:15], v9, s[8:9]
	v_and_b32_e32 v95, 0xff, v16
	v_add_nc_u32_e32 v80, 0x3000, v43
	v_add_nc_u32_e32 v76, 0x1000, v43
	v_lshlrev_b32_e32 v8, 4, v85
	v_add_nc_u32_e32 v75, 0x1c00, v43
	v_lshlrev_b32_e32 v16, 4, v95
	v_add_nc_u32_e32 v74, 0x2800, v43
	v_add_nc_u32_e32 v73, 0x3400, v43
	global_load_b128 v[8:11], v8, s[8:9]
	v_add_nc_u32_e32 v71, 0x1400, v43
	global_load_b128 v[20:23], v16, s[8:9]
	v_sub_nc_u16 v16, v34, v17
	v_lshlrev_b32_e32 v29, 3, v33
	v_add_nc_u32_e32 v70, 0x2000, v43
	v_add_nc_u32_e32 v69, 0x2c00, v43
	v_lshlrev_b32_e32 v50, 3, v28
	v_and_b32_e32 v91, 0xffff, v16
	v_sub_nc_u32_e32 v72, v44, v29
	v_lshlrev_b32_e32 v51, 3, v37
	v_lshlrev_b32_e32 v52, 3, v36
	;; [unrolled: 1-line block ×5, first 2 shown]
	v_sub_nc_u32_e32 v58, v49, v50
	v_sub_nc_u32_e32 v57, v48, v51
	;; [unrolled: 1-line block ×3, first 2 shown]
	global_load_b128 v[16:19], v16, s[8:9]
	ds_load_2addr_b32 v[96:97], v77 offset0:107 offset1:232
	ds_load_2addr_b32 v[98:99], v78 offset0:89 offset1:214
	;; [unrolled: 1-line block ×11, first 2 shown]
	v_sub_nc_u32_e32 v55, v46, v53
	v_sub_nc_u32_e32 v25, v45, v54
	v_and_b32_e32 v94, 0xffff, v94
	v_lshlrev_b32_e32 v95, 2, v95
	v_lshlrev_b32_e32 v89, 2, v89
	v_mul_u32_u24_e32 v88, 60, v88
	v_lshlrev_b32_e32 v90, 2, v90
	v_mul_u32_u24_e32 v94, 60, v94
	v_mul_u32_u24_e32 v87, 60, v87
	v_cmp_gt_u32_e64 s0, 0x4b, v24
	v_add3_u32 v88, 0, v88, v89
	s_mov_b32 s1, exec_lo
	v_add3_u32 v94, 0, v94, v95
	s_wait_dscnt 0xa
	v_lshrrev_b32_e32 v118, 16, v96
	s_wait_dscnt 0x9
	v_lshrrev_b32_e32 v119, 16, v98
	;; [unrolled: 2-line block ×4, first 2 shown]
	v_lshrrev_b32_e32 v122, 16, v97
	v_lshrrev_b32_e32 v123, 16, v99
	s_wait_dscnt 0x5
	v_lshrrev_b32_e32 v128, 16, v106
	v_lshrrev_b32_e32 v124, 16, v101
	;; [unrolled: 1-line block ×3, first 2 shown]
	s_wait_dscnt 0x4
	v_lshrrev_b32_e32 v130, 16, v108
	v_lshrrev_b32_e32 v127, 16, v104
	;; [unrolled: 1-line block ×4, first 2 shown]
	v_add3_u32 v90, 0, v87, v90
	s_wait_loadcnt 0x5
	v_lshrrev_b32_e32 v126, 16, v0
	v_lshrrev_b32_e32 v129, 16, v1
	;; [unrolled: 1-line block ×4, first 2 shown]
	s_delay_alu instid0(VALU_DEP_4) | instskip(NEXT) | instid1(VALU_DEP_4)
	v_mul_f16_e64 v131, v96, v126
	v_mul_f16_e64 v134, v98, v129
	v_mul_f16_e32 v126, v118, v126
	v_mul_f16_e64 v129, v119, v129
	s_delay_alu instid0(VALU_DEP_4)
	v_fmac_f16_e64 v131, v118, v0
	v_mul_f16_e64 v118, v100, v132
	v_fmac_f16_e64 v134, v119, v1
	v_mul_f16_e64 v119, v102, v133
	v_mul_f16_e64 v132, v120, v132
	;; [unrolled: 1-line block ×3, first 2 shown]
	v_fmac_f16_e32 v118, v120, v2
	s_wait_loadcnt 0x4
	v_lshrrev_b32_e32 v120, 16, v4
	v_fmac_f16_e32 v119, v121, v3
	v_lshrrev_b32_e32 v121, 16, v5
	v_fma_f16 v126, v96, v0, -v126
	v_fma_f16 v100, v100, v2, -v132
	v_mul_f16_e32 v0, v122, v120
	v_mul_f16_e32 v120, v97, v120
	v_fma_f16 v102, v102, v3, -v133
	v_mul_f16_e32 v3, v123, v121
	v_mul_f16_e32 v121, v99, v121
	v_fma_f16 v132, v97, v4, -v0
	v_fmac_f16_e32 v120, v122, v4
	s_wait_loadcnt 0x3
	v_lshrrev_b32_e32 v4, 16, v13
	v_lshrrev_b32_e32 v2, 16, v6
	v_fmac_f16_e32 v121, v123, v5
	v_lshrrev_b32_e32 v0, 16, v7
	v_fma_f16 v133, v99, v5, -v3
	v_mul_f16_e32 v123, v106, v4
	v_mul_f16_e64 v4, v128, v4
	v_mul_f16_e32 v96, v124, v2
	v_mul_f16_e64 v135, v101, v2
	v_lshrrev_b32_e32 v5, 16, v14
	v_fma_f16 v129, v98, v1, -v129
	v_fma_f16 v106, v106, v13, -v4
	ds_load_b32 v4, v72
	s_wait_dscnt 0x4
	v_lshrrev_b32_e32 v1, 16, v110
	v_mul_f16_e32 v2, v125, v0
	v_fma_f16 v101, v101, v6, -v96
	v_mul_f16_e64 v138, v103, v0
	v_lshrrev_b32_e32 v0, 16, v12
	v_fmac_f16_e64 v135, v124, v6
	v_lshrrev_b32_e32 v6, 16, v15
	s_wait_loadcnt 0x2
	v_lshrrev_b32_e32 v97, 16, v10
	v_mul_f16_e32 v124, v108, v5
	v_mul_f16_e64 v5, v130, v5
	v_lshrrev_b32_e32 v3, 16, v105
	v_fma_f16 v103, v103, v7, -v2
	v_lshrrev_b32_e32 v2, 16, v111
	v_fmac_f16_e64 v138, v125, v7
	v_lshrrev_b32_e32 v7, 16, v8
	v_mul_f16_e32 v122, v104, v0
	v_mul_f16_e32 v0, v127, v0
	;; [unrolled: 1-line block ×3, first 2 shown]
	v_lshrrev_b32_e32 v99, 16, v11
	v_mul_f16_e32 v6, v1, v6
	v_fma_f16 v108, v108, v14, -v5
	v_mul_f16_e64 v5, v137, v97
	v_fmac_f16_e32 v122, v127, v12
	v_fmac_f16_e64 v123, v128, v13
	v_fmac_f16_e32 v125, v1, v15
	v_fma_f16 v104, v104, v12, -v0
	v_fma_f16 v110, v110, v15, -v6
	v_mul_f16_e32 v0, v3, v7
	v_mul_f16_e32 v12, v105, v7
	;; [unrolled: 1-line block ×4, first 2 shown]
	v_fma_f16 v97, v109, v10, -v5
	v_mul_f16_e32 v15, v111, v99
	s_wait_dscnt 0x0
	v_lshrrev_b32_e32 v5, 16, v4
	s_wait_loadcnt 0x1
	v_lshrrev_b32_e32 v7, 16, v20
	v_lshrrev_b32_e32 v96, 16, v9
	v_fma_f16 v99, v111, v11, -v6
	v_fmac_f16_e32 v15, v2, v11
	v_fmac_f16_e64 v124, v130, v14
	v_mul_f16_e32 v2, v7, v5
	v_mul_f16_e32 v11, v7, v4
	v_lshrrev_b32_e32 v7, 16, v22
	v_mul_f16_e64 v1, v136, v96
	v_mul_f16_e32 v14, v107, v96
	v_lshrrev_b32_e32 v6, 16, v113
	v_fmac_f16_e32 v12, v3, v8
	v_lshrrev_b32_e32 v3, 16, v115
	v_fmac_f16_e64 v13, v137, v10
	v_lshrrev_b32_e32 v10, 16, v21
	v_fma_f16 v128, v20, v4, -v2
	v_fmac_f16_e32 v11, v20, v5
	v_mul_f16_e32 v20, v115, v7
	v_fma_f16 v98, v105, v8, -v0
	v_fma_f16 v96, v107, v9, -v1
	ds_load_b32 v105, v58
	ds_load_b32 v107, v57
	ds_load_b32 v109, v56
	ds_load_b32 v1, v55
	ds_load_b32 v0, v25
	ds_load_b32 v111, v43 offset:14500
	v_fmac_f16_e64 v14, v136, v9
	v_lshrrev_b32_e32 v9, 16, v112
	v_lshrrev_b32_e32 v127, 16, v23
	v_mul_f16_e64 v130, v113, v10
	v_mul_f16_e32 v2, v6, v10
	v_mul_f16_e32 v4, v3, v7
	v_fmac_f16_e32 v20, v3, v22
	s_wait_loadcnt 0x0
	v_lshrrev_b32_e32 v3, 16, v16
	v_lshrrev_b32_e32 v8, 16, v117
	v_fmac_f16_e64 v130, v6, v21
	v_mul_f16_e32 v10, v117, v127
	v_fma_f16 v21, v113, v21, -v2
	v_mul_f16_e32 v6, v9, v3
	v_fma_f16 v22, v115, v22, -v4
	ds_load_b32 v115, v43
	v_lshrrev_b32_e32 v113, 16, v114
	v_lshrrev_b32_e32 v2, 16, v17
	v_mul_f16_e32 v5, v8, v127
	v_fmac_f16_e32 v10, v8, v23
	v_mul_f16_e32 v3, v112, v3
	v_fma_f16 v6, v112, v16, -v6
	v_mul_f16_e32 v4, v113, v2
	v_lshrrev_b32_e32 v112, 16, v116
	v_lshrrev_b32_e32 v8, 16, v18
	v_fma_f16 v23, v117, v23, -v5
	v_mul_f16_e32 v5, v114, v2
	v_fma_f16 v7, v114, v17, -v4
	s_wait_dscnt 0x1
	v_lshrrev_b32_e32 v114, 16, v111
	v_mul_f16_e32 v4, v112, v8
	v_mul_f16_e32 v2, v116, v8
	v_fmac_f16_e32 v3, v9, v16
	v_fmac_f16_e32 v5, v113, v17
	v_sub_f16_e64 v17, v128, v21
	v_fma_f16 v8, v116, v18, -v4
	v_lshrrev_b32_e32 v4, 16, v19
	s_wait_dscnt 0x0
	v_lshrrev_b32_e32 v16, 16, v115
	v_fmac_f16_e32 v2, v112, v18
	v_sub_f16_e32 v18, v23, v22
	v_sub_f16_e32 v112, v10, v20
	v_mul_f16_e32 v116, v114, v4
	v_mul_f16_e32 v4, v111, v4
	v_add_f16_e32 v113, v21, v22
	v_add_f16_e32 v17, v17, v18
	v_sub_f16_e64 v95, v130, v20
	v_fma_f16 v9, v111, v19, -v116
	v_fmac_f16_e32 v4, v114, v19
	v_add_f16_e64 v19, v115, v128
	v_add_f16_e32 v111, v16, v11
	v_fma_f16 v113, -0.5, v113, v115
	v_sub_f16_e32 v114, v11, v10
	v_sub_f16_e64 v116, v128, v23
	v_add_f16_e32 v18, v19, v21
	v_add_f16_e64 v19, v111, v130
	v_sub_f16_e64 v111, v11, v130
	v_sub_f16_e32 v127, v21, v22
	v_sub_f16_e64 v21, v21, v128
	v_add_f16_e32 v18, v18, v22
	v_add_f16_e32 v19, v19, v20
	;; [unrolled: 1-line block ×3, first 2 shown]
	v_add_f16_e64 v112, v130, v20
	v_sub_f16_e32 v22, v22, v23
	v_add_f16_e32 v18, v18, v23
	v_add_f16_e32 v19, v19, v10
	global_wb scope:SCOPE_SE
	v_fma_f16 v112, -0.5, v112, v16
	v_add_f16_e32 v21, v21, v22
	s_barrier_signal -1
	v_pack_b32_f16 v18, v18, v19
	v_fmamk_f16 v19, v114, 0x3b9c, v113
	v_fmamk_f16 v117, v116, 0xbb9c, v112
	v_fmac_f16_e32 v113, 0xbb9c, v114
	v_fmac_f16_e32 v112, 0x3b9c, v116
	s_barrier_wait -1
	v_fmac_f16_e32 v19, 0x38b4, v95
	v_fmac_f16_e32 v117, 0xb8b4, v127
	;; [unrolled: 1-line block ×3, first 2 shown]
	global_inv scope:SCOPE_SE
	v_fmac_f16_e32 v112, 0x38b4, v127
	v_fmac_f16_e32 v19, 0x34f2, v17
	;; [unrolled: 1-line block ×4, first 2 shown]
	v_sub_f16_e32 v17, v102, v100
	v_fmac_f16_e32 v112, 0x34f2, v111
	v_sub_f16_e32 v111, v126, v102
	v_pack_b32_f16 v19, v19, v117
	v_add_f16_e64 v117, v128, v23
	v_add_f16_e32 v23, v11, v10
	v_sub_f16_e64 v11, v130, v11
	v_sub_f16_e32 v10, v20, v10
	ds_store_2addr_b32 v94, v18, v19 offset1:3
	v_fmac_f16_e32 v115, -0.5, v117
	v_fmac_f16_e32 v16, -0.5, v23
	v_sub_f16_e64 v18, v131, v134
	v_add_f16_e32 v10, v11, v10
	v_sub_f16_e32 v19, v119, v118
	v_fmamk_f16 v22, v95, 0xbb9c, v115
	v_fmac_f16_e32 v115, 0x3b9c, v95
	v_fmamk_f16 v20, v127, 0x3b9c, v16
	v_fmac_f16_e32 v16, 0xbb9c, v127
	v_sub_f16_e64 v23, v131, v119
	v_fmac_f16_e32 v22, 0x38b4, v114
	v_fmac_f16_e32 v115, 0xb8b4, v114
	;; [unrolled: 1-line block ×4, first 2 shown]
	v_sub_f16_e64 v95, v134, v118
	v_fmac_f16_e32 v22, 0x34f2, v21
	v_fmac_f16_e32 v115, 0x34f2, v21
	;; [unrolled: 1-line block ×4, first 2 shown]
	v_and_b32_e32 v21, 0xffff, v92
	v_add_f16_e64 v92, v134, v118
	v_sub_f16_e64 v114, v129, v126
	v_pack_b32_f16 v10, v22, v20
	v_pack_b32_f16 v11, v115, v16
	v_sub_f16_e64 v16, v126, v129
	v_add_f16_e64 v20, v129, v100
	v_add_f16_e64 v115, v131, v119
	v_lshlrev_b32_e32 v22, 2, v93
	ds_store_2addr_b32 v94, v10, v11 offset0:6 offset1:9
	v_add_f16_e32 v16, v16, v17
	v_add_f16_e32 v17, v18, v19
	;; [unrolled: 1-line block ×3, first 2 shown]
	v_lshrrev_b32_e32 v10, 16, v105
	v_pack_b32_f16 v11, v113, v112
	v_add_f16_e32 v113, v126, v102
	v_fma_f16 v20, -0.5, v20, v105
	v_add_f16_e64 v18, v18, v129
	v_add_f16_e64 v19, v10, v131
	v_mul_u32_u24_e32 v21, 60, v21
	v_fma_f16 v92, -0.5, v92, v10
	v_sub_f16_e64 v112, v129, v100
	v_add_f16_e32 v18, v18, v100
	v_sub_f16_e32 v100, v100, v102
	v_fmac_f16_e32 v105, -0.5, v113
	v_fmac_f16_e32 v10, -0.5, v115
	v_add_f16_e64 v19, v19, v134
	v_fmamk_f16 v93, v23, 0x3b9c, v20
	v_add3_u32 v21, 0, v21, v22
	v_add_f16_e32 v18, v18, v102
	v_fmamk_f16 v22, v111, 0xbb9c, v92
	v_add_f16_e32 v100, v114, v100
	v_sub_f16_e64 v102, v134, v131
	v_fmamk_f16 v113, v95, 0xbb9c, v105
	v_sub_f16_e32 v114, v118, v119
	v_fmamk_f16 v115, v112, 0x3b9c, v10
	v_fmac_f16_e32 v105, 0x3b9c, v95
	v_fmac_f16_e32 v10, 0xbb9c, v112
	v_add_f16_e32 v19, v19, v118
	v_fmac_f16_e32 v93, 0x38b4, v95
	v_fmac_f16_e32 v22, 0xb8b4, v112
	v_fmac_f16_e32 v113, 0x38b4, v23
	v_add_f16_e32 v102, v102, v114
	v_fmac_f16_e32 v115, 0xb8b4, v111
	;; [unrolled: 4-line block ×3, first 2 shown]
	v_fmac_f16_e32 v22, 0x34f2, v17
	v_fmac_f16_e32 v113, 0x34f2, v100
	;; [unrolled: 1-line block ×6, first 2 shown]
	v_pack_b32_f16 v18, v18, v19
	v_pack_b32_f16 v19, v93, v22
	;; [unrolled: 1-line block ×4, first 2 shown]
	v_fmac_f16_e32 v92, 0x3b9c, v111
	v_fmac_f16_e32 v20, 0xb8b4, v95
	ds_store_b32 v94, v11 offset:48
	ds_store_2addr_b32 v21, v18, v19 offset1:3
	v_sub_f16_e32 v11, v103, v101
	ds_store_2addr_b32 v21, v22, v10 offset0:6 offset1:9
	v_fmac_f16_e32 v92, 0x38b4, v112
	v_sub_f16_e64 v10, v132, v133
	v_fmac_f16_e32 v20, 0x34f2, v16
	v_sub_f16_e32 v16, v120, v121
	v_sub_f16_e64 v18, v138, v135
	v_fmac_f16_e32 v92, 0x34f2, v17
	v_add_f16_e32 v10, v10, v11
	v_lshrrev_b32_e32 v11, 16, v107
	v_add_f16_e64 v17, v133, v101
	v_add_f16_e32 v16, v16, v18
	v_add_f16_e64 v18, v121, v135
	v_add_f16_e64 v19, v107, v132
	v_add_f16_e32 v22, v11, v120
	v_fma_f16 v17, -0.5, v17, v107
	v_sub_f16_e64 v23, v120, v138
	v_fma_f16 v18, -0.5, v18, v11
	v_sub_f16_e64 v93, v132, v103
	v_add_f16_e64 v19, v19, v133
	v_add_f16_e32 v22, v22, v121
	v_fmamk_f16 v94, v23, 0x3b9c, v17
	v_sub_f16_e64 v95, v121, v135
	v_fmamk_f16 v100, v93, 0xbb9c, v18
	v_sub_f16_e64 v102, v133, v101
	v_add_f16_e32 v19, v19, v101
	v_add_f16_e64 v22, v22, v135
	v_fmac_f16_e32 v94, 0x38b4, v95
	v_add_f16_e64 v105, v132, v103
	v_fmac_f16_e32 v100, 0xb8b4, v102
	v_add_f16_e32 v19, v19, v103
	v_add_f16_e64 v22, v22, v138
	v_fmac_f16_e32 v94, 0x34f2, v10
	v_pack_b32_f16 v20, v20, v92
	v_fmac_f16_e32 v100, 0x34f2, v16
	v_sub_f16_e64 v89, v133, v132
	v_pack_b32_f16 v19, v19, v22
	v_sub_f16_e32 v92, v101, v103
	v_fmac_f16_e32 v107, -0.5, v105
	v_pack_b32_f16 v22, v94, v100
	v_add_f16_e64 v94, v120, v138
	ds_store_b32 v21, v20 offset:48
	v_sub_f16_e32 v21, v121, v120
	v_fmac_f16_e32 v17, 0xbb9c, v23
	ds_store_2addr_b32 v88, v19, v22 offset1:3
	v_fmac_f16_e32 v11, -0.5, v94
	v_add_f16_e32 v19, v89, v92
	v_sub_f16_e64 v22, v135, v138
	v_fmamk_f16 v20, v95, 0xbb9c, v107
	v_fmac_f16_e32 v18, 0x3b9c, v93
	v_fmamk_f16 v89, v102, 0x3b9c, v11
	v_fmac_f16_e32 v11, 0xbb9c, v102
	v_fmac_f16_e32 v107, 0x3b9c, v95
	v_add_f16_e32 v21, v21, v22
	v_fmac_f16_e32 v17, 0xb8b4, v95
	v_fmac_f16_e32 v89, 0xb8b4, v93
	;; [unrolled: 1-line block ×9, first 2 shown]
	v_sub_f16_e32 v10, v104, v106
	v_sub_f16_e32 v21, v110, v108
	;; [unrolled: 1-line block ×4, first 2 shown]
	v_fmac_f16_e32 v20, 0x34f2, v19
	v_fmac_f16_e32 v18, 0x34f2, v16
	v_lshrrev_b32_e32 v16, 16, v109
	v_add_f16_e32 v10, v10, v21
	v_add_f16_e32 v21, v22, v23
	v_add_f16_e32 v22, v106, v108
	v_add_f16_e32 v92, v104, v110
	v_add_f16_e32 v95, v123, v124
	v_pack_b32_f16 v20, v20, v89
	v_add_f16_e32 v89, v16, v122
	v_add_f16_e32 v100, v122, v125
	v_fmac_f16_e32 v107, 0x34f2, v19
	v_add_f16_e32 v19, v109, v104
	v_sub_f16_e32 v23, v104, v110
	v_fma_f16 v22, -0.5, v22, v109
	v_fmac_f16_e32 v109, -0.5, v92
	v_sub_f16_e32 v92, v122, v125
	v_sub_f16_e32 v101, v123, v122
	;; [unrolled: 1-line block ×3, first 2 shown]
	v_fma_f16 v95, -0.5, v95, v16
	v_pack_b32_f16 v17, v17, v18
	v_add_f16_e32 v18, v89, v123
	v_sub_f16_e32 v89, v106, v108
	v_sub_f16_e32 v93, v106, v104
	;; [unrolled: 1-line block ×4, first 2 shown]
	v_fmac_f16_e32 v16, -0.5, v100
	v_add_f16_e32 v19, v19, v106
	v_add_f16_e32 v100, v101, v103
	v_fmamk_f16 v103, v92, 0x3b9c, v22
	v_fmamk_f16 v104, v23, 0xbb9c, v95
	v_add_f16_e32 v93, v93, v94
	v_fmamk_f16 v94, v102, 0xbb9c, v109
	v_fmac_f16_e32 v109, 0x3b9c, v102
	v_fmamk_f16 v101, v89, 0x3b9c, v16
	v_fmac_f16_e32 v16, 0xbb9c, v89
	v_add_f16_e32 v19, v19, v108
	v_add_f16_e32 v18, v18, v124
	v_fmac_f16_e32 v103, 0x38b4, v102
	v_fmac_f16_e32 v104, 0xb8b4, v89
	;; [unrolled: 1-line block ×6, first 2 shown]
	v_add_f16_e32 v19, v19, v110
	v_add_f16_e32 v18, v18, v125
	v_fmac_f16_e32 v103, 0x34f2, v10
	v_fmac_f16_e32 v104, 0x34f2, v21
	;; [unrolled: 1-line block ×6, first 2 shown]
	v_pack_b32_f16 v11, v107, v11
	v_fmac_f16_e32 v22, 0xbb9c, v92
	v_pack_b32_f16 v18, v19, v18
	v_pack_b32_f16 v19, v103, v104
	;; [unrolled: 1-line block ×4, first 2 shown]
	ds_store_2addr_b32 v88, v20, v11 offset0:6 offset1:9
	ds_store_b32 v88, v17 offset:48
	ds_store_2addr_b32 v90, v18, v19 offset1:3
	ds_store_2addr_b32 v90, v87, v16 offset0:6 offset1:9
	v_add_f16_e32 v11, v96, v97
	v_fmac_f16_e32 v22, 0xb8b4, v102
	v_sub_f16_e32 v16, v98, v96
	v_sub_f16_e32 v17, v99, v97
	;; [unrolled: 1-line block ×3, first 2 shown]
	v_fma_f16 v11, -0.5, v11, v1
	v_fmac_f16_e32 v22, 0x34f2, v10
	v_fmac_f16_e32 v95, 0x3b9c, v23
	v_add_f16_e32 v10, v16, v17
	v_add_f16_e32 v16, v98, v99
	v_fmamk_f16 v17, v18, 0x3b9c, v11
	v_sub_f16_e32 v19, v14, v13
	v_lshrrev_b32_e32 v20, 16, v1
	v_add_f16_e32 v23, v1, v98
	v_fmac_f16_e32 v1, -0.5, v16
	v_fmac_f16_e32 v11, 0xbb9c, v18
	v_fmac_f16_e32 v17, 0x38b4, v19
	v_sub_f16_e32 v16, v96, v98
	v_sub_f16_e32 v87, v97, v99
	v_fmamk_f16 v88, v19, 0xbb9c, v1
	v_fmac_f16_e32 v1, 0x3b9c, v19
	v_fmac_f16_e32 v11, 0xb8b4, v19
	v_add_f16_e32 v19, v23, v96
	v_add_f16_e32 v16, v16, v87
	v_fmac_f16_e32 v88, 0x38b4, v18
	v_fmac_f16_e32 v1, 0xb8b4, v18
	v_fmac_f16_e32 v95, 0x38b4, v89
	v_add_f16_e32 v18, v19, v97
	v_fmac_f16_e32 v17, 0x34f2, v10
	v_fmac_f16_e32 v11, 0x34f2, v10
	v_fmac_f16_e32 v88, 0x34f2, v16
	v_fmac_f16_e32 v1, 0x34f2, v16
	v_add_f16_e32 v10, v18, v99
	v_add_f16_e32 v16, v20, v12
	;; [unrolled: 1-line block ×3, first 2 shown]
	v_fmac_f16_e32 v95, 0x34f2, v21
	v_sub_f16_e32 v19, v98, v99
	v_sub_f16_e32 v21, v12, v14
	;; [unrolled: 1-line block ×3, first 2 shown]
	v_add_f16_e32 v16, v16, v14
	v_fma_f16 v18, -0.5, v18, v20
	v_add_f16_e32 v89, v12, v15
	v_sub_f16_e32 v87, v96, v97
	v_add_f16_e32 v21, v21, v23
	v_add_f16_e32 v16, v16, v13
	v_fmamk_f16 v23, v19, 0xbb9c, v18
	v_fmac_f16_e32 v18, 0x3b9c, v19
	v_fmac_f16_e32 v20, -0.5, v89
	v_sub_f16_e32 v12, v14, v12
	v_add_f16_e32 v14, v16, v15
	v_fmac_f16_e32 v23, 0xb8b4, v87
	v_fmac_f16_e32 v18, 0x38b4, v87
	v_sub_f16_e32 v13, v13, v15
	v_fmamk_f16 v15, v87, 0x3b9c, v20
	v_fmac_f16_e32 v20, 0xbb9c, v87
	v_fmac_f16_e32 v23, 0x34f2, v21
	;; [unrolled: 1-line block ×3, first 2 shown]
	v_sub_f16_e32 v16, v6, v7
	v_sub_f16_e32 v21, v9, v8
	v_add_f16_e32 v12, v12, v13
	v_add_f16_e32 v13, v7, v8
	v_fmac_f16_e32 v15, 0xb8b4, v19
	v_fmac_f16_e32 v20, 0x38b4, v19
	v_add_f16_e32 v19, v6, v9
	v_add_f16_e32 v16, v16, v21
	v_fma_f16 v13, -0.5, v13, v0
	v_sub_f16_e32 v21, v3, v4
	v_lshrrev_b32_e32 v89, 16, v0
	v_add_f16_e32 v87, v0, v6
	v_fmac_f16_e32 v0, -0.5, v19
	v_sub_f16_e32 v19, v5, v2
	v_fmamk_f16 v92, v21, 0x3b9c, v13
	v_fmac_f16_e32 v13, 0xbb9c, v21
	v_sub_f16_e32 v93, v7, v6
	v_sub_f16_e32 v94, v8, v9
	v_fmamk_f16 v96, v19, 0xbb9c, v0
	v_fmac_f16_e32 v0, 0x3b9c, v19
	v_add_f16_e32 v87, v87, v7
	v_fmac_f16_e32 v92, 0x38b4, v19
	v_fmac_f16_e32 v13, 0xb8b4, v19
	v_add_f16_e32 v19, v93, v94
	v_fmac_f16_e32 v96, 0x38b4, v21
	v_fmac_f16_e32 v0, 0xb8b4, v21
	;; [unrolled: 1-line block ×4, first 2 shown]
	v_add_f16_e32 v12, v87, v8
	v_fmac_f16_e32 v92, 0x34f2, v16
	v_fmac_f16_e32 v13, 0x34f2, v16
	;; [unrolled: 1-line block ×4, first 2 shown]
	v_add_f16_e32 v16, v5, v2
	v_add_f16_e32 v12, v12, v9
	v_sub_f16_e32 v6, v6, v9
	v_sub_f16_e32 v9, v3, v5
	;; [unrolled: 1-line block ×3, first 2 shown]
	v_add_f16_e32 v87, v89, v3
	v_fma_f16 v16, -0.5, v16, v89
	v_add_f16_e32 v21, v3, v4
	v_sub_f16_e32 v7, v7, v8
	v_add_f16_e32 v8, v9, v19
	v_add_f16_e32 v19, v87, v5
	v_fmamk_f16 v9, v6, 0xbb9c, v16
	v_fmac_f16_e32 v89, -0.5, v21
	v_sub_f16_e32 v3, v5, v3
	v_fmac_f16_e32 v16, 0x3b9c, v6
	v_sub_f16_e32 v5, v2, v4
	v_add_f16_e32 v2, v19, v2
	v_fmac_f16_e32 v9, 0xb8b4, v7
	v_fmamk_f16 v21, v7, 0x3b9c, v89
	v_fmac_f16_e32 v89, 0xbb9c, v7
	v_fmac_f16_e32 v16, 0x38b4, v7
	v_add_f16_e32 v3, v3, v5
	v_add_f16_e32 v2, v2, v4
	v_lshlrev_b32_e32 v4, 2, v85
	v_mul_u32_u24_e32 v5, 60, v84
	v_mul_lo_u16 v7, 0x89, v81
	v_fmac_f16_e32 v21, 0xb8b4, v6
	v_fmac_f16_e32 v89, 0x38b4, v6
	;; [unrolled: 1-line block ×4, first 2 shown]
	v_pack_b32_f16 v6, v22, v95
	v_add3_u32 v4, 0, v5, v4
	v_pack_b32_f16 v5, v10, v14
	v_pack_b32_f16 v8, v17, v23
	v_lshrrev_b16 v87, 11, v7
	ds_store_b32 v90, v6 offset:48
	v_fmac_f16_e32 v21, 0x34f2, v3
	v_fmac_f16_e32 v89, 0x34f2, v3
	ds_store_2addr_b32 v4, v5, v8 offset1:3
	v_mul_lo_u16 v5, v87, 15
	v_lshlrev_b32_e32 v3, 2, v91
	v_pack_b32_f16 v10, v88, v15
	v_pack_b32_f16 v1, v1, v20
	v_mul_u32_u24_e32 v6, 60, v86
	v_sub_nc_u16 v5, v28, v5
	v_mul_u32_u24_e32 v8, 0x8889, v42
	v_pack_b32_f16 v7, v96, v21
	ds_store_2addr_b32 v4, v10, v1 offset0:6 offset1:9
	v_pack_b32_f16 v1, v11, v18
	v_add3_u32 v3, 0, v6, v3
	v_pack_b32_f16 v0, v0, v89
	v_and_b32_e32 v86, 0xff, v5
	v_lshrrev_b32_e32 v84, 19, v8
	v_pack_b32_f16 v2, v12, v2
	v_pack_b32_f16 v6, v92, v9
	;; [unrolled: 1-line block ×3, first 2 shown]
	ds_store_b32 v4, v1 offset:48
	ds_store_2addr_b32 v3, v2, v6 offset1:3
	ds_store_2addr_b32 v3, v7, v0 offset0:6 offset1:9
	ds_store_b32 v3, v9 offset:48
	v_lshlrev_b32_e32 v0, 4, v86
	v_mul_lo_u16 v1, v84, 15
	global_wb scope:SCOPE_SE
	s_wait_dscnt 0x0
	s_barrier_signal -1
	s_barrier_wait -1
	global_inv scope:SCOPE_SE
	global_load_b128 v[12:15], v0, s[8:9] offset:48
	v_sub_nc_u16 v0, v37, v1
	v_mul_u32_u24_e32 v8, 0x8889, v83
	v_lshlrev_b32_e32 v86, 2, v86
	s_delay_alu instid0(VALU_DEP_3) | instskip(NEXT) | instid1(VALU_DEP_1)
	v_and_b32_e32 v85, 0xffff, v0
	v_lshlrev_b32_e32 v0, 4, v85
	global_load_b128 v[16:19], v0, s[8:9] offset:48
	v_mul_u32_u24_e32 v0, 0x8889, v82
	s_delay_alu instid0(VALU_DEP_1) | instskip(NEXT) | instid1(VALU_DEP_1)
	v_lshrrev_b32_e32 v20, 19, v0
	v_mul_lo_u16 v0, v20, 15
	s_delay_alu instid0(VALU_DEP_1) | instskip(NEXT) | instid1(VALU_DEP_1)
	v_sub_nc_u16 v0, v36, v0
	v_and_b32_e32 v21, 0xffff, v0
	v_mul_u32_u24_e32 v0, 0x8889, v39
	v_lshrrev_b32_e32 v39, 19, v8
	s_delay_alu instid0(VALU_DEP_3) | instskip(NEXT) | instid1(VALU_DEP_3)
	v_lshlrev_b32_e32 v1, 4, v21
	v_lshrrev_b32_e32 v22, 19, v0
	s_delay_alu instid0(VALU_DEP_3) | instskip(SKIP_3) | instid1(VALU_DEP_2)
	v_mul_lo_u16 v8, v39, 15
	global_load_b128 v[122:125], v1, s[8:9] offset:48
	v_mul_lo_u16 v0, v22, 15
	v_sub_nc_u16 v8, v34, v8
	v_sub_nc_u16 v0, v35, v0
	s_delay_alu instid0(VALU_DEP_1) | instskip(SKIP_1) | instid1(VALU_DEP_4)
	v_and_b32_e32 v23, 0xffff, v0
	v_mul_lo_u16 v0, 0x89, v40
	v_and_b32_e32 v40, 0xffff, v8
	s_delay_alu instid0(VALU_DEP_3) | instskip(NEXT) | instid1(VALU_DEP_3)
	v_lshlrev_b32_e32 v1, 4, v23
	v_lshrrev_b16 v118, 11, v0
	s_delay_alu instid0(VALU_DEP_3) | instskip(SKIP_4) | instid1(VALU_DEP_1)
	v_lshlrev_b32_e32 v8, 4, v40
	global_load_b128 v[4:7], v1, s[8:9] offset:48
	v_mul_lo_u16 v0, v118, 15
	global_load_b128 v[8:11], v8, s[8:9] offset:48
	v_sub_nc_u16 v0, v24, v0
	v_and_b32_e32 v117, 0xff, v0
	s_delay_alu instid0(VALU_DEP_1)
	v_lshlrev_b32_e32 v0, 4, v117
	v_lshlrev_b32_e32 v117, 2, v117
	global_load_b128 v[0:3], v0, s[8:9] offset:48
	ds_load_2addr_b32 v[82:83], v77 offset0:107 offset1:232
	ds_load_2addr_b32 v[88:89], v78 offset0:89 offset1:214
	ds_load_2addr_b32 v[90:91], v79 offset0:71 offset1:196
	ds_load_2addr_b32 v[92:93], v80 offset0:53 offset1:178
	ds_load_2addr_b32 v[115:116], v75 offset0:83 offset1:208
	ds_load_2addr_b32 v[126:127], v74 offset0:65 offset1:190
	s_wait_dscnt 0x5
	v_lshrrev_b32_e32 v94, 16, v82
	s_wait_dscnt 0x4
	v_lshrrev_b32_e32 v95, 16, v88
	;; [unrolled: 2-line block ×4, first 2 shown]
	s_wait_loadcnt 0x5
	v_lshrrev_b32_e32 v96, 16, v12
	v_lshrrev_b32_e32 v98, 16, v13
	;; [unrolled: 1-line block ×3, first 2 shown]
	s_delay_alu instid0(VALU_DEP_3) | instskip(SKIP_1) | instid1(VALU_DEP_4)
	v_mul_f16_e32 v101, v94, v96
	v_mul_f16_e32 v107, v82, v96
	;; [unrolled: 1-line block ×4, first 2 shown]
	v_lshrrev_b32_e32 v98, 16, v15
	v_fma_f16 v111, v82, v12, -v101
	v_fmac_f16_e32 v107, v94, v12
	v_fma_f16 v112, v88, v13, -v96
	v_mul_f16_e32 v12, v97, v100
	v_mul_f16_e32 v109, v90, v100
	;; [unrolled: 1-line block ×4, first 2 shown]
	v_fmac_f16_e32 v108, v95, v13
	v_lshrrev_b32_e32 v82, 16, v83
	s_wait_loadcnt 0x4
	v_lshrrev_b32_e32 v13, 16, v16
	v_fma_f16 v113, v90, v14, -v12
	v_fmac_f16_e32 v109, v97, v14
	v_fma_f16 v114, v92, v15, -v88
	v_fmac_f16_e32 v110, v99, v15
	ds_load_2addr_b32 v[14:15], v76 offset0:101 offset1:226
	v_mul_f16_e32 v12, v82, v13
	v_lshrrev_b32_e32 v90, 16, v89
	v_lshrrev_b32_e32 v94, 16, v17
	;; [unrolled: 1-line block ×4, first 2 shown]
	v_fma_f16 v99, v83, v16, -v12
	v_lshrrev_b32_e32 v12, 16, v18
	v_lshrrev_b32_e32 v96, 16, v19
	v_mul_f16_e32 v100, v83, v13
	v_mul_f16_e32 v92, v90, v94
	;; [unrolled: 1-line block ×7, first 2 shown]
	v_fmac_f16_e32 v100, v82, v16
	ds_load_2addr_b32 v[12:13], v73 offset0:47 offset1:172
	v_fma_f16 v103, v89, v17, -v92
	v_fma_f16 v105, v91, v18, -v97
	;; [unrolled: 1-line block ×3, first 2 shown]
	v_fmac_f16_e32 v101, v90, v17
	v_fmac_f16_e32 v102, v88, v18
	s_wait_loadcnt 0x3
	v_lshrrev_b32_e32 v16, 16, v122
	s_wait_dscnt 0x1
	v_lshrrev_b32_e32 v17, 16, v14
	v_lshrrev_b32_e32 v18, 16, v123
	v_fmac_f16_e32 v104, v95, v19
	v_lshrrev_b32_e32 v19, 16, v115
	v_mul_f16_e32 v91, v14, v16
	v_mul_f16_e32 v16, v17, v16
	v_mul_f16_e32 v92, v115, v18
	v_lshrrev_b32_e32 v82, 16, v124
	v_lshrrev_b32_e32 v83, 16, v126
	v_fmac_f16_e32 v91, v17, v122
	v_mul_f16_e32 v17, v19, v18
	v_fmac_f16_e32 v92, v19, v123
	v_lshrrev_b32_e32 v18, 16, v125
	v_mul_f16_e32 v93, v126, v82
	s_wait_dscnt 0x0
	v_lshrrev_b32_e32 v88, 16, v12
	v_fma_f16 v95, v115, v123, -v17
	ds_load_b32 v123, v72
	v_mul_f16_e32 v19, v83, v82
	v_lshrrev_b32_e32 v121, 16, v15
	v_mul_f16_e32 v94, v12, v18
	s_wait_loadcnt 0x2
	v_lshrrev_b32_e32 v82, 16, v4
	v_fmac_f16_e32 v93, v83, v124
	v_mul_f16_e32 v18, v88, v18
	v_fma_f16 v97, v14, v122, -v16
	v_fma_f16 v96, v126, v124, -v19
	v_mul_f16_e32 v14, v121, v82
	v_lshrrev_b32_e32 v122, 16, v116
	v_lshrrev_b32_e32 v16, 16, v5
	;; [unrolled: 1-line block ×4, first 2 shown]
	v_fmac_f16_e32 v94, v88, v125
	v_fma_f16 v98, v12, v125, -v18
	v_fma_f16 v88, v15, v4, -v14
	v_mul_f16_e32 v14, v122, v16
	v_mul_f16_e32 v12, v15, v82
	;; [unrolled: 1-line block ×3, first 2 shown]
	s_wait_dscnt 0x0
	v_lshrrev_b32_e32 v131, 16, v123
	v_mul_f16_e32 v83, v116, v16
	v_fma_f16 v89, v116, v5, -v14
	v_mul_f16_e32 v82, v127, v17
	v_fma_f16 v90, v127, v6, -v15
	s_wait_loadcnt 0x0
	v_lshrrev_b32_e32 v126, 16, v0
	ds_load_2addr_b32 v[18:19], v71 offset0:95 offset1:220
	ds_load_2addr_b32 v[16:17], v70 offset0:77 offset1:202
	;; [unrolled: 1-line block ×3, first 2 shown]
	ds_load_b32 v128, v58
	ds_load_b32 v129, v57
	;; [unrolled: 1-line block ×5, first 2 shown]
	ds_load_b32 v130, v43 offset:14500
	v_lshrrev_b32_e32 v125, 16, v13
	v_lshrrev_b32_e32 v120, 16, v7
	v_fmac_f16_e32 v12, v121, v4
	v_mul_f16_e64 v4, v126, v131
	v_mul_f16_e32 v121, v126, v123
	v_fmac_f16_e32 v83, v122, v5
	v_mul_f16_e32 v127, v125, v120
	v_mul_f16_e32 v120, v13, v120
	v_lshrrev_b32_e32 v5, 16, v1
	v_fma_f16 v122, v0, v123, -v4
	v_fmac_f16_e64 v121, v0, v131
	v_lshrrev_b32_e32 v0, 16, v2
	v_fma_f16 v13, v13, v7, -v127
	v_fmac_f16_e32 v82, v124, v6
	v_fmac_f16_e32 v120, v125, v7
	s_wait_dscnt 0x8
	v_lshrrev_b32_e32 v4, 16, v19
	v_mul_f16_e32 v123, v5, v19
	v_lshrrev_b32_e32 v6, 16, v3
	s_wait_dscnt 0x7
	v_lshrrev_b32_e32 v7, 16, v17
	v_mul_f16_e32 v124, v0, v17
	s_wait_dscnt 0x6
	v_lshrrev_b32_e32 v125, 16, v15
	v_mul_f16_e32 v5, v5, v4
	v_mul_f16_e32 v126, v15, v6
	v_fmac_f16_e32 v123, v1, v4
	v_mul_f16_e32 v0, v0, v7
	v_fmac_f16_e32 v124, v2, v7
	v_mul_f16_e32 v4, v125, v6
	v_lshrrev_b32_e32 v7, 16, v18
	v_lshrrev_b32_e32 v6, 16, v8
	v_fma_f16 v17, v2, v17, -v0
	v_fmac_f16_e32 v126, v125, v3
	v_lshrrev_b32_e32 v125, 16, v16
	v_lshrrev_b32_e32 v127, 16, v9
	v_mul_f16_e32 v0, v7, v6
	v_fma_f16 v19, v1, v19, -v5
	v_mul_f16_e32 v2, v18, v6
	v_lshrrev_b32_e32 v131, 16, v14
	v_mul_f16_e32 v1, v125, v127
	v_fma_f16 v5, v18, v8, -v0
	ds_load_b32 v18, v43
	v_lshrrev_b32_e32 v132, 16, v10
	v_fma_f16 v15, v15, v3, -v4
	v_fma_f16 v4, v16, v9, -v1
	v_mul_f16_e32 v3, v16, v127
	s_wait_dscnt 0x1
	v_lshrrev_b32_e32 v16, 16, v130
	v_mul_f16_e64 v1, v131, v132
	v_lshrrev_b32_e32 v127, 16, v11
	v_mul_f16_e64 v0, v14, v132
	v_fmac_f16_e32 v2, v7, v8
	v_fmac_f16_e32 v3, v125, v9
	v_fma_f16 v6, v14, v10, -v1
	v_mul_f16_e32 v7, v16, v127
	v_mul_f16_e64 v1, v130, v127
	v_sub_f16_e32 v8, v122, v19
	v_sub_f16_e32 v9, v15, v17
	;; [unrolled: 1-line block ×4, first 2 shown]
	v_fmac_f16_e64 v0, v131, v10
	v_fma_f16 v7, v130, v11, -v7
	v_fmac_f16_e32 v1, v16, v11
	s_wait_dscnt 0x0
	v_lshrrev_b32_e32 v10, 16, v18
	v_add_f16_e32 v11, v19, v17
	v_add_f16_e32 v16, v123, v124
	;; [unrolled: 1-line block ×4, first 2 shown]
	v_and_b32_e32 v14, 0xffff, v118
	v_add_f16_e32 v118, v18, v122
	v_add_f16_e32 v125, v10, v121
	v_fma_f16 v11, -0.5, v11, v18
	v_sub_f16_e32 v127, v121, v126
	v_fma_f16 v16, -0.5, v16, v10
	v_sub_f16_e64 v130, v122, v15
	v_add_f16_e32 v118, v118, v19
	v_add_f16_e32 v125, v125, v123
	v_fma_f16 v131, 0x3b9c, v127, v11
	v_sub_f16_e64 v132, v123, v124
	v_fma_f16 v133, 0xbb9c, v130, v16
	v_sub_f16_e64 v134, v19, v17
	v_add_f16_e32 v118, v118, v17
	v_add_f16_e32 v125, v125, v124
	v_fmac_f16_e64 v131, 0x38b4, v132
	v_mul_u32_u24_e32 v14, 0x12c, v14
	v_fmac_f16_e64 v133, 0xb8b4, v134
	v_add_f16_e32 v118, v118, v15
	v_add_f16_e32 v125, v125, v126
	v_fmac_f16_e64 v131, 0x34f2, v8
	v_add3_u32 v14, 0, v14, v117
	v_fmac_f16_e64 v133, 0x34f2, v9
	v_sub_f16_e32 v19, v19, v122
	v_pack_b32_f16 v117, v118, v125
	v_add_f16_e32 v125, v122, v15
	v_sub_f16_e32 v15, v17, v15
	v_pack_b32_f16 v118, v131, v133
	v_add_f16_e64 v131, v121, v126
	global_wb scope:SCOPE_SE
	v_fmac_f16_e32 v18, -0.5, v125
	s_barrier_signal -1
	s_barrier_wait -1
	v_fmac_f16_e64 v10, -0.5, v131
	global_inv scope:SCOPE_SE
	ds_store_2addr_b32 v14, v117, v118 offset1:15
	v_sub_f16_e32 v17, v123, v121
	v_fma_f16 v117, 0xbb9c, v132, v18
	v_sub_f16_e32 v118, v124, v126
	v_add_f16_e32 v15, v19, v15
	v_fma_f16 v19, 0x3b9c, v134, v10
	v_fmac_f16_e32 v11, 0xbb9c, v127
	v_fmac_f16_e64 v16, 0x3b9c, v130
	v_fmac_f16_e64 v18, 0x3b9c, v132
	v_fmac_f16_e32 v117, 0x38b4, v127
	v_add_f16_e32 v17, v17, v118
	v_fmac_f16_e64 v10, 0xbb9c, v134
	v_fmac_f16_e64 v19, 0xb8b4, v130
	v_fmac_f16_e64 v11, 0xb8b4, v132
	v_fmac_f16_e64 v16, 0x38b4, v134
	v_fmac_f16_e32 v18, 0xb8b4, v127
	v_fmac_f16_e32 v117, 0x34f2, v15
	v_fmac_f16_e64 v10, 0x38b4, v130
	v_fmac_f16_e32 v19, 0x34f2, v17
	v_fmac_f16_e32 v11, 0x34f2, v8
	;; [unrolled: 1-line block ×5, first 2 shown]
	v_pack_b32_f16 v15, v117, v19
	v_sub_f16_e32 v8, v111, v112
	v_sub_f16_e32 v9, v114, v113
	;; [unrolled: 1-line block ×4, first 2 shown]
	v_pack_b32_f16 v11, v11, v16
	v_lshrrev_b32_e32 v16, 16, v128
	v_pack_b32_f16 v10, v18, v10
	v_add_f16_e32 v8, v8, v9
	v_add_f16_e32 v9, v17, v19
	v_add_f16_e64 v18, v128, v111
	v_add_f16_e32 v19, v16, v107
	v_and_b32_e32 v17, 0xffff, v87
	v_add_f16_e32 v87, v112, v113
	v_add_f16_e32 v117, v108, v109
	;; [unrolled: 1-line block ×4, first 2 shown]
	v_mul_u32_u24_e32 v17, 0x12c, v17
	v_fma_f16 v87, -0.5, v87, v128
	v_sub_f16_e32 v118, v107, v110
	v_add_f16_e32 v18, v18, v113
	v_add_f16_e32 v19, v19, v109
	v_fma_f16 v117, -0.5, v117, v16
	v_sub_f16_e32 v121, v111, v114
	v_sub_f16_e32 v123, v108, v109
	v_add_f16_e32 v18, v18, v114
	v_add_f16_e32 v19, v19, v110
	v_sub_f16_e32 v125, v112, v113
	v_add3_u32 v17, 0, v17, v86
	v_sub_f16_e32 v86, v112, v111
	v_fmamk_f16 v122, v118, 0x3b9c, v87
	v_pack_b32_f16 v18, v18, v19
	v_add_f16_e32 v19, v111, v114
	v_sub_f16_e32 v111, v113, v114
	v_fmamk_f16 v124, v121, 0xbb9c, v117
	v_fmac_f16_e32 v122, 0x38b4, v123
	v_fmac_f16_e32 v87, 0xbb9c, v118
	v_fmac_f16_e64 v128, -0.5, v19
	v_add_f16_e32 v19, v107, v110
	v_sub_f16_e32 v107, v108, v107
	v_sub_f16_e32 v108, v109, v110
	v_fmac_f16_e32 v124, 0xb8b4, v125
	v_fma_f16 v109, 0xbb9c, v123, v128
	v_fmac_f16_e32 v16, -0.5, v19
	v_add_f16_e32 v19, v86, v111
	v_add_f16_e32 v86, v107, v108
	v_fmac_f16_e64 v128, 0x3b9c, v123
	v_fmac_f16_e32 v109, 0x38b4, v118
	v_fmamk_f16 v107, v125, 0x3b9c, v16
	v_fmac_f16_e32 v16, 0xbb9c, v125
	v_fmac_f16_e32 v117, 0x3b9c, v121
	v_fmac_f16_e64 v128, 0xb8b4, v118
	v_fmac_f16_e32 v122, 0x34f2, v8
	v_fmac_f16_e32 v107, 0xb8b4, v121
	;; [unrolled: 1-line block ×7, first 2 shown]
	v_fmac_f16_e64 v128, 0x34f2, v19
	v_fmac_f16_e32 v107, 0x34f2, v86
	v_fmac_f16_e32 v16, 0x34f2, v86
	;; [unrolled: 1-line block ×3, first 2 shown]
	v_pack_b32_f16 v8, v122, v124
	v_fmac_f16_e32 v117, 0x34f2, v9
	v_pack_b32_f16 v9, v109, v107
	v_pack_b32_f16 v16, v128, v16
	ds_store_2addr_b32 v14, v15, v10 offset0:30 offset1:45
	ds_store_b32 v14, v11 offset:240
	ds_store_2addr_b32 v17, v18, v8 offset1:15
	ds_store_2addr_b32 v17, v9, v16 offset0:30 offset1:45
	v_lshrrev_b32_e32 v8, 16, v129
	v_add_f16_e64 v9, v129, v99
	v_pack_b32_f16 v10, v87, v117
	v_sub_f16_e32 v11, v106, v105
	v_add_f16_e32 v19, v101, v102
	v_add_f16_e32 v14, v8, v100
	;; [unrolled: 1-line block ×3, first 2 shown]
	ds_store_b32 v17, v10 offset:240
	v_sub_f16_e32 v10, v99, v103
	v_sub_f16_e32 v15, v100, v101
	v_add_f16_e32 v14, v14, v101
	v_add_f16_e32 v9, v9, v105
	v_sub_f16_e32 v16, v104, v102
	v_add_f16_e32 v10, v10, v11
	v_add_f16_e32 v11, v103, v105
	;; [unrolled: 1-line block ×4, first 2 shown]
	v_lshlrev_b32_e32 v17, 2, v85
	v_mul_u32_u24_e32 v18, 0x12c, v84
	v_sub_f16_e32 v84, v99, v106
	v_add_f16_e32 v14, v14, v104
	v_fma_f16 v11, -0.5, v11, v129
	v_sub_f16_e32 v85, v100, v104
	v_fma_f16 v19, -0.5, v19, v8
	v_sub_f16_e32 v86, v103, v105
	v_pack_b32_f16 v9, v9, v14
	v_add_f16_e32 v14, v99, v106
	v_sub_f16_e32 v87, v101, v102
	v_fmamk_f16 v107, v85, 0x3b9c, v11
	v_fmamk_f16 v108, v84, 0xbb9c, v19
	v_add_f16_e32 v15, v15, v16
	v_fmac_f16_e64 v129, -0.5, v14
	v_add_f16_e32 v14, v100, v104
	v_add3_u32 v16, 0, v18, v17
	v_sub_f16_e32 v17, v103, v99
	v_sub_f16_e32 v18, v105, v106
	v_fmac_f16_e32 v107, 0x38b4, v87
	v_fmac_f16_e32 v8, -0.5, v14
	v_fmac_f16_e32 v108, 0xb8b4, v86
	v_sub_f16_e32 v99, v101, v100
	v_sub_f16_e32 v100, v102, v104
	v_fma_f16 v102, 0xbb9c, v87, v129
	v_add_f16_e32 v14, v17, v18
	v_fmac_f16_e64 v129, 0x3b9c, v87
	v_fmamk_f16 v18, v86, 0x3b9c, v8
	v_fmac_f16_e32 v8, 0xbb9c, v86
	v_fmac_f16_e32 v11, 0xbb9c, v85
	;; [unrolled: 1-line block ×5, first 2 shown]
	v_add_f16_e32 v17, v99, v100
	v_fmac_f16_e32 v102, 0x38b4, v85
	v_fmac_f16_e64 v129, 0xb8b4, v85
	v_fmac_f16_e32 v18, 0xb8b4, v84
	v_fmac_f16_e32 v8, 0x38b4, v84
	;; [unrolled: 1-line block ×4, first 2 shown]
	v_pack_b32_f16 v101, v107, v108
	v_fmac_f16_e32 v102, 0x34f2, v14
	v_fmac_f16_e64 v129, 0x34f2, v14
	v_fmac_f16_e32 v18, 0x34f2, v17
	v_fmac_f16_e32 v8, 0x34f2, v17
	;; [unrolled: 1-line block ×4, first 2 shown]
	ds_store_2addr_b32 v16, v9, v101 offset1:15
	v_pack_b32_f16 v9, v102, v18
	v_add_f16_e32 v10, v95, v96
	v_pack_b32_f16 v8, v129, v8
	v_pack_b32_f16 v11, v11, v19
	v_sub_f16_e32 v14, v97, v95
	v_sub_f16_e32 v15, v98, v96
	v_fma_f16 v10, -0.5, v10, v119
	v_sub_f16_e32 v17, v91, v94
	ds_store_2addr_b32 v16, v9, v8 offset0:30 offset1:45
	ds_store_b32 v16, v11 offset:240
	v_add_f16_e32 v9, v97, v98
	v_add_f16_e32 v16, v119, v97
	;; [unrolled: 1-line block ×3, first 2 shown]
	v_fmamk_f16 v11, v17, 0x3b9c, v10
	v_sub_f16_e32 v14, v92, v93
	v_lshrrev_b32_e32 v15, 16, v119
	v_fmac_f16_e32 v119, -0.5, v9
	v_fmac_f16_e32 v10, 0xbb9c, v17
	v_add_f16_e32 v16, v16, v95
	v_fmac_f16_e32 v11, 0x38b4, v14
	v_sub_f16_e32 v9, v95, v97
	v_fmamk_f16 v19, v14, 0xbb9c, v119
	v_fmac_f16_e32 v119, 0x3b9c, v14
	v_fmac_f16_e32 v10, 0xb8b4, v14
	v_add_f16_e32 v14, v16, v96
	v_sub_f16_e32 v18, v96, v98
	v_fmac_f16_e32 v11, 0x34f2, v8
	v_fmac_f16_e32 v19, 0x38b4, v17
	;; [unrolled: 1-line block ×3, first 2 shown]
	v_add_f16_e32 v8, v14, v98
	v_add_f16_e32 v14, v92, v93
	;; [unrolled: 1-line block ×3, first 2 shown]
	v_fmac_f16_e32 v119, 0xb8b4, v17
	v_sub_f16_e32 v16, v97, v98
	v_sub_f16_e32 v17, v91, v92
	;; [unrolled: 1-line block ×3, first 2 shown]
	v_fma_f16 v14, -0.5, v14, v15
	v_sub_f16_e32 v84, v95, v96
	v_add_f16_e32 v85, v91, v94
	v_fmac_f16_e32 v19, 0x34f2, v9
	v_add_f16_e32 v17, v17, v18
	v_fmamk_f16 v18, v16, 0xbb9c, v14
	v_fmac_f16_e32 v14, 0x3b9c, v16
	v_fmac_f16_e32 v119, 0x34f2, v9
	v_add_f16_e32 v9, v15, v91
	v_fmac_f16_e32 v15, -0.5, v85
	v_sub_f16_e32 v85, v92, v91
	v_fmac_f16_e32 v18, 0xb8b4, v84
	v_fmac_f16_e32 v14, 0x38b4, v84
	v_sub_f16_e32 v86, v93, v94
	v_add_f16_e32 v9, v9, v92
	v_fmamk_f16 v87, v84, 0x3b9c, v15
	v_fmac_f16_e32 v15, 0xbb9c, v84
	v_fmac_f16_e32 v18, 0x34f2, v17
	v_fmac_f16_e32 v14, 0x34f2, v17
	v_add_f16_e32 v17, v85, v86
	v_add_f16_e32 v84, v89, v90
	v_sub_f16_e32 v85, v88, v89
	v_sub_f16_e32 v86, v13, v90
	v_add_f16_e32 v9, v9, v93
	v_fmac_f16_e32 v87, 0xb8b4, v16
	v_fmac_f16_e32 v15, 0x38b4, v16
	v_fma_f16 v16, -0.5, v84, v116
	v_sub_f16_e32 v84, v12, v120
	v_add_f16_e32 v85, v85, v86
	v_add_f16_e32 v86, v88, v13
	;; [unrolled: 1-line block ×3, first 2 shown]
	v_lshrrev_b32_e32 v91, 16, v116
	v_add_f16_e32 v92, v116, v88
	v_fmamk_f16 v93, v84, 0x3b9c, v16
	v_sub_f16_e32 v94, v83, v82
	v_fmac_f16_e32 v116, -0.5, v86
	v_fmac_f16_e32 v16, 0xbb9c, v84
	v_sub_f16_e32 v86, v89, v88
	v_sub_f16_e32 v95, v90, v13
	v_fmac_f16_e32 v93, 0x38b4, v94
	v_fmamk_f16 v96, v94, 0xbb9c, v116
	v_fmac_f16_e32 v116, 0x3b9c, v94
	v_fmac_f16_e32 v16, 0xb8b4, v94
	v_add_f16_e32 v92, v92, v89
	v_add_f16_e32 v86, v86, v95
	v_fmac_f16_e32 v96, 0x38b4, v84
	v_fmac_f16_e32 v116, 0xb8b4, v84
	;; [unrolled: 1-line block ×4, first 2 shown]
	v_add_f16_e32 v17, v92, v90
	v_fmac_f16_e32 v93, 0x34f2, v85
	v_fmac_f16_e32 v16, 0x34f2, v85
	v_add_f16_e32 v85, v83, v82
	v_fmac_f16_e32 v96, 0x34f2, v86
	v_fmac_f16_e32 v116, 0x34f2, v86
	v_add_f16_e32 v17, v17, v13
	v_add_f16_e32 v84, v91, v12
	v_sub_f16_e32 v13, v88, v13
	v_sub_f16_e32 v86, v12, v83
	;; [unrolled: 1-line block ×3, first 2 shown]
	v_fma_f16 v92, -0.5, v85, v91
	v_add_f16_e32 v84, v84, v83
	v_sub_f16_e32 v85, v89, v90
	v_add_f16_e32 v89, v12, v120
	v_add_f16_e32 v86, v86, v88
	v_fmamk_f16 v88, v13, 0xbb9c, v92
	v_fmac_f16_e32 v92, 0x3b9c, v13
	v_add_f16_e32 v84, v84, v82
	v_fmac_f16_e32 v91, -0.5, v89
	v_sub_f16_e32 v12, v83, v12
	v_fmac_f16_e32 v88, 0xb8b4, v85
	v_fmac_f16_e32 v92, 0x38b4, v85
	v_add_f16_e32 v83, v84, v120
	v_sub_f16_e32 v82, v82, v120
	v_fmamk_f16 v84, v85, 0x3b9c, v91
	v_fmac_f16_e32 v91, 0xbb9c, v85
	v_fmac_f16_e32 v88, 0x34f2, v86
	;; [unrolled: 1-line block ×3, first 2 shown]
	v_sub_f16_e32 v85, v5, v4
	v_sub_f16_e32 v86, v7, v6
	v_add_f16_e32 v12, v12, v82
	v_add_f16_e32 v82, v4, v6
	v_fmac_f16_e32 v84, 0xb8b4, v13
	v_fmac_f16_e32 v91, 0x38b4, v13
	v_add_f16_e32 v13, v85, v86
	v_add_f16_e32 v85, v5, v7
	v_fma_f16 v82, -0.5, v82, v115
	v_sub_f16_e32 v86, v2, v1
	v_lshrrev_b32_e32 v89, 16, v115
	v_add_f16_e32 v90, v115, v5
	v_fmac_f16_e32 v115, -0.5, v85
	v_sub_f16_e32 v85, v3, v0
	v_fmamk_f16 v94, v86, 0x3b9c, v82
	v_fmac_f16_e32 v82, 0xbb9c, v86
	v_sub_f16_e32 v95, v4, v5
	v_sub_f16_e32 v97, v6, v7
	v_fmamk_f16 v98, v85, 0xbb9c, v115
	v_fmac_f16_e32 v115, 0x3b9c, v85
	v_add_f16_e32 v90, v90, v4
	v_fmac_f16_e32 v94, 0x38b4, v85
	v_fmac_f16_e32 v82, 0xb8b4, v85
	v_add_f16_e32 v85, v95, v97
	v_fmac_f16_e32 v98, 0x38b4, v86
	v_fmac_f16_e32 v115, 0xb8b4, v86
	;; [unrolled: 1-line block ×4, first 2 shown]
	v_add_f16_e32 v12, v90, v6
	v_fmac_f16_e32 v94, 0x34f2, v13
	v_fmac_f16_e32 v82, 0x34f2, v13
	;; [unrolled: 1-line block ×4, first 2 shown]
	v_add_f16_e32 v13, v3, v0
	v_add_f16_e32 v12, v12, v7
	v_sub_f16_e32 v5, v5, v7
	v_sub_f16_e32 v7, v2, v3
	;; [unrolled: 1-line block ×3, first 2 shown]
	v_add_f16_e32 v86, v2, v1
	v_add_f16_e32 v90, v89, v2
	v_fma_f16 v13, -0.5, v13, v89
	v_sub_f16_e32 v4, v4, v6
	v_add_f16_e32 v6, v7, v85
	v_fmac_f16_e32 v89, -0.5, v86
	v_add_f16_e32 v85, v90, v3
	v_fmamk_f16 v7, v5, 0xbb9c, v13
	v_sub_f16_e32 v2, v3, v2
	v_fmac_f16_e32 v13, 0x3b9c, v5
	v_sub_f16_e32 v3, v0, v1
	v_fmamk_f16 v86, v4, 0x3b9c, v89
	v_fmac_f16_e32 v89, 0xbb9c, v4
	v_add_f16_e32 v0, v85, v0
	v_fmac_f16_e32 v7, 0xb8b4, v4
	v_fmac_f16_e32 v13, 0x38b4, v4
	v_add_f16_e32 v2, v2, v3
	v_fmac_f16_e32 v86, 0xb8b4, v5
	v_fmac_f16_e32 v89, 0x38b4, v5
	v_add_f16_e32 v0, v0, v1
	v_lshlrev_b32_e32 v1, 2, v21
	v_mul_u32_u24_e32 v3, 0x12c, v20
	v_fmac_f16_e32 v7, 0x34f2, v6
	v_fmac_f16_e32 v13, 0x34f2, v6
	;; [unrolled: 1-line block ×4, first 2 shown]
	v_add3_u32 v1, 0, v3, v1
	v_pack_b32_f16 v2, v8, v9
	v_pack_b32_f16 v3, v11, v18
	v_lshlrev_b32_e32 v6, 2, v23
	v_mul_u32_u24_e32 v8, 0x12c, v22
	v_pack_b32_f16 v4, v19, v87
	v_pack_b32_f16 v5, v119, v15
	ds_store_2addr_b32 v1, v2, v3 offset1:15
	v_pack_b32_f16 v2, v10, v14
	v_add3_u32 v3, 0, v8, v6
	v_add_nc_u32_e32 v8, 0xffffffb5, v24
	v_lshlrev_b32_e32 v9, 2, v40
	ds_store_2addr_b32 v1, v4, v5 offset0:30 offset1:45
	v_pack_b32_f16 v4, v17, v83
	v_pack_b32_f16 v5, v93, v88
	s_wait_alu 0xf1ff
	v_cndmask_b32_e64 v85, v8, v24, s0
	ds_store_b32 v1, v2 offset:240
	v_mul_u32_u24_e32 v1, 0x12c, v39
	v_mov_b32_e32 v40, 0
	ds_store_2addr_b32 v3, v4, v5 offset1:15
	v_mul_i32_i24_e32 v39, 9, v85
	v_pack_b32_f16 v5, v12, v0
	v_add3_u32 v4, 0, v1, v9
	v_pack_b32_f16 v6, v96, v84
	v_pack_b32_f16 v10, v116, v91
	v_lshlrev_b64_e32 v[0:1], 2, v[39:40]
	v_pack_b32_f16 v2, v16, v92
	v_pack_b32_f16 v8, v115, v89
	;; [unrolled: 1-line block ×3, first 2 shown]
	ds_store_2addr_b32 v3, v6, v10 offset0:30 offset1:45
	v_pack_b32_f16 v6, v94, v7
	v_add_co_u32 v88, s0, s8, v0
	s_wait_alu 0xf1ff
	v_add_co_ci_u32_e64 v89, s0, s9, v1, s0
	v_pack_b32_f16 v7, v98, v86
	ds_store_b32 v3, v2 offset:240
	ds_store_2addr_b32 v4, v5, v6 offset1:15
	ds_store_2addr_b32 v4, v7, v8 offset0:30 offset1:45
	ds_store_b32 v4, v9 offset:240
	global_wb scope:SCOPE_SE
	s_wait_dscnt 0x0
	s_barrier_signal -1
	s_barrier_wait -1
	global_inv scope:SCOPE_SE
	global_load_b128 v[12:15], v[88:89], off offset:288
	v_mul_lo_u16 v10, 0xdb, v81
	v_mul_u32_u24_e32 v0, 0xb4e9, v42
	v_lshl_add_u32 v81, v32, 2, 0
	v_cmp_lt_u32_e64 s0, 0x4a, v24
	s_delay_alu instid0(VALU_DEP_4) | instskip(NEXT) | instid1(VALU_DEP_4)
	v_lshrrev_b16 v39, 14, v10
	v_lshrrev_b32_e32 v0, 16, v0
	s_delay_alu instid0(VALU_DEP_2) | instskip(NEXT) | instid1(VALU_DEP_2)
	v_mul_lo_u16 v1, 0x4b, v39
	v_sub_nc_u16 v2, v37, v0
	s_delay_alu instid0(VALU_DEP_2) | instskip(NEXT) | instid1(VALU_DEP_1)
	v_sub_nc_u16 v1, v28, v1
	v_and_b32_e32 v84, 0xff, v1
	s_delay_alu instid0(VALU_DEP_3) | instskip(NEXT) | instid1(VALU_DEP_2)
	v_lshrrev_b16 v1, 1, v2
	v_mul_u32_u24_e32 v2, 9, v84
	s_delay_alu instid0(VALU_DEP_2) | instskip(NEXT) | instid1(VALU_DEP_2)
	v_add_nc_u16 v0, v1, v0
	v_lshlrev_b32_e32 v87, 2, v2
	s_delay_alu instid0(VALU_DEP_2) | instskip(SKIP_2) | instid1(VALU_DEP_1)
	v_lshrrev_b16 v83, 6, v0
	global_load_b128 v[8:11], v87, s[8:9] offset:288
	v_mul_lo_u16 v0, 0x4b, v83
	v_sub_nc_u16 v0, v37, v0
	s_delay_alu instid0(VALU_DEP_1) | instskip(NEXT) | instid1(VALU_DEP_1)
	v_and_b32_e32 v82, 0xffff, v0
	v_mul_u32_u24_e32 v0, 9, v82
	s_delay_alu instid0(VALU_DEP_1)
	v_lshlrev_b32_e32 v86, 2, v0
	s_clause 0x4
	global_load_b128 v[4:7], v86, s[8:9] offset:288
	global_load_b128 v[0:3], v[88:89], off offset:304
	global_load_b128 v[16:19], v87, s[8:9] offset:304
	global_load_b128 v[20:23], v86, s[8:9] offset:304
	global_load_b32 v89, v[88:89], off offset:320
	ds_load_b32 v91, v56
	ds_load_2addr_b32 v[41:42], v41 offset0:92 offset1:217
	ds_load_b32 v90, v72
	ds_load_b32 v92, v58
	;; [unrolled: 1-line block ×3, first 2 shown]
	ds_load_u16 v97, v81 offset:2
	ds_load_b32 v98, v81
	global_load_b32 v108, v87, s[8:9] offset:320
	ds_load_b32 v107, v43
	s_wait_dscnt 0x7
	v_lshrrev_b32_e32 v95, 16, v91
	s_wait_dscnt 0x6
	v_lshrrev_b32_e32 v99, 16, v41
	;; [unrolled: 2-line block ×3, first 2 shown]
	s_wait_loadcnt 0x7
	v_lshrrev_b32_e32 v96, 16, v13
	v_lshrrev_b32_e32 v103, 16, v15
	;; [unrolled: 1-line block ×4, first 2 shown]
	s_delay_alu instid0(VALU_DEP_4) | instskip(SKIP_1) | instid1(VALU_DEP_4)
	v_mul_f16_e32 v104, v96, v100
	v_mul_f16_e32 v106, v96, v90
	;; [unrolled: 1-line block ×4, first 2 shown]
	s_delay_alu instid0(VALU_DEP_4) | instskip(NEXT) | instid1(VALU_DEP_4)
	v_fma_f16 v104, v13, v90, -v104
	v_fmac_f16_e32 v106, v13, v100
	v_mul_f16_e32 v100, v41, v103
	v_mul_f16_e32 v13, v99, v103
	global_load_b32 v103, v86, s[8:9] offset:320
	v_fma_f16 v105, v12, v91, -v94
	ds_load_2addr_b32 v[93:94], v68 offset0:116 offset1:241
	v_fmac_f16_e32 v102, v12, v95
	ds_load_2addr_b32 v[90:91], v77 offset0:107 offset1:232
	ds_load_2addr_b32 v[95:96], v64 offset0:98 offset1:223
	s_wait_dscnt 0x5
	v_mul_f16_e32 v12, v97, v101
	v_lshrrev_b32_e32 v68, 16, v42
	s_wait_dscnt 0x4
	v_mul_f16_e32 v101, v101, v98
	v_fmac_f16_e32 v100, v99, v15
	v_fma_f16 v98, v14, v98, -v12
	s_delay_alu instid0(VALU_DEP_3) | instskip(SKIP_1) | instid1(VALU_DEP_4)
	v_fmac_f16_e32 v101, v97, v14
	v_fma_f16 v97, v41, v15, -v13
	v_sub_f16_e32 v119, v106, v100
	s_delay_alu instid0(VALU_DEP_4) | instskip(NEXT) | instid1(VALU_DEP_4)
	v_add_f16_e64 v130, v105, v98
	v_add_f16_e64 v131, v102, v101
	s_wait_loadcnt 0x7
	v_lshrrev_b32_e32 v64, 16, v11
	v_lshrrev_b32_e32 v13, 16, v8
	;; [unrolled: 1-line block ×4, first 2 shown]
	s_wait_dscnt 0x0
	v_lshrrev_b32_e32 v86, 16, v95
	v_mul_f16_e32 v12, v68, v64
	v_mul_f16_e32 v109, v42, v64
	;; [unrolled: 1-line block ×3, first 2 shown]
	v_lshrrev_b32_e32 v64, 16, v90
	v_mul_f16_e32 v110, v90, v15
	v_fma_f16 v99, v42, v11, -v12
	v_lshrrev_b32_e32 v12, 16, v93
	v_mul_f16_e32 v42, v95, v41
	v_fmac_f16_e32 v109, v68, v11
	v_fmac_f16_e32 v110, v64, v9
	ds_load_2addr_b32 v[67:68], v67 offset0:86 offset1:211
	v_mul_f16_e32 v13, v12, v13
	v_fmac_f16_e32 v14, v12, v8
	v_mul_f16_e32 v12, v64, v15
	v_mul_f16_e32 v15, v86, v41
	v_fmac_f16_e32 v42, v86, v10
	v_fma_f16 v41, v93, v8, -v13
	s_wait_loadcnt 0x6
	v_lshrrev_b32_e32 v11, 16, v4
	v_lshrrev_b32_e32 v93, 16, v91
	;; [unrolled: 1-line block ×4, first 2 shown]
	v_fma_f16 v111, v90, v9, -v12
	v_lshrrev_b32_e32 v112, 16, v96
	v_lshrrev_b32_e32 v87, 16, v6
	v_mul_f16_e32 v12, v93, v64
	v_mul_f16_e32 v9, v94, v11
	;; [unrolled: 1-line block ×3, first 2 shown]
	v_fma_f16 v95, v95, v10, -v15
	v_mul_f16_e32 v11, v112, v87
	v_fma_f16 v13, v91, v5, -v12
	v_mul_f16_e32 v12, v91, v64
	ds_load_2addr_b32 v[63:64], v63 offset0:74 offset1:199
	v_mul_f16_e32 v10, v96, v87
	v_fmac_f16_e32 v9, v86, v4
	ds_load_2addr_b32 v[86:87], v62 offset0:68 offset1:193
	ds_load_2addr_b32 v[90:91], v66 offset0:56 offset1:181
	v_fma_f16 v8, v94, v4, -v8
	v_lshrrev_b32_e32 v15, 16, v7
	s_wait_dscnt 0x3
	v_lshrrev_b32_e32 v94, 16, v67
	v_lshrrev_b32_e32 v62, 16, v68
	s_wait_loadcnt 0x5
	v_lshrrev_b32_e32 v66, 16, v0
	v_fma_f16 v11, v96, v6, -v11
	v_mul_f16_e32 v4, v67, v15
	v_fmac_f16_e32 v12, v93, v5
	v_fmac_f16_e32 v10, v112, v6
	v_mul_f16_e32 v5, v94, v15
	v_mul_f16_e32 v6, v62, v66
	;; [unrolled: 1-line block ×3, first 2 shown]
	v_lshrrev_b32_e32 v15, 16, v1
	v_fmac_f16_e32 v4, v94, v7
	v_fma_f16 v5, v67, v7, -v5
	v_fma_f16 v67, v68, v0, -v6
	s_wait_dscnt 0x2
	v_lshrrev_b32_e32 v68, 16, v63
	v_fmac_f16_e32 v66, v62, v0
	v_mul_f16_e32 v93, v63, v15
	v_lshrrev_b32_e32 v0, 16, v2
	v_lshrrev_b32_e32 v62, 16, v3
	s_wait_dscnt 0x0
	v_lshrrev_b32_e32 v96, 16, v90
	v_mul_f16_e32 v15, v68, v15
	v_lshrrev_b32_e32 v94, 16, v87
	v_mul_f16_e32 v112, v87, v0
	v_mul_f16_e32 v113, v90, v62
	ds_load_2addr_b32 v[6:7], v61 offset0:80 offset1:205
	v_fmac_f16_e32 v93, v68, v1
	v_mul_f16_e32 v68, v96, v62
	ds_load_2addr_b32 v[61:62], v65 offset0:62 offset1:187
	v_mul_f16_e32 v0, v94, v0
	v_fmac_f16_e32 v112, v94, v2
	v_lshrrev_b32_e32 v65, 16, v64
	s_wait_loadcnt 0x4
	v_lshrrev_b32_e32 v94, 16, v17
	v_lshrrev_b32_e32 v114, 16, v91
	;; [unrolled: 1-line block ×3, first 2 shown]
	v_fmac_f16_e32 v113, v96, v3
	v_fma_f16 v96, v63, v1, -v15
	v_mul_f16_e32 v1, v65, v94
	v_fma_f16 v87, v87, v2, -v0
	v_mul_f16_e32 v0, v114, v115
	v_fma_f16 v68, v90, v3, -v68
	v_lshrrev_b32_e32 v2, 16, v16
	v_fma_f16 v90, v64, v17, -v1
	v_mul_f16_e32 v94, v64, v94
	v_lshrrev_b32_e32 v1, 16, v18
	v_fma_f16 v116, v91, v19, -v0
	s_wait_dscnt 0x1
	v_lshrrev_b32_e32 v0, 16, v6
	v_mul_f16_e32 v117, v6, v2
	v_mul_f16_e32 v91, v91, v115
	s_wait_dscnt 0x0
	v_lshrrev_b32_e32 v3, 16, v61
	v_fmac_f16_e32 v94, v65, v17
	v_mul_f16_e32 v65, v61, v1
	ds_load_2addr_b32 v[63:64], v60 offset0:50 offset1:175
	v_mul_f16_e32 v2, v0, v2
	v_fmac_f16_e32 v117, v0, v16
	v_mul_f16_e32 v0, v3, v1
	v_lshrrev_b32_e32 v17, 16, v7
	s_wait_loadcnt 0x3
	v_lshrrev_b32_e32 v1, 16, v20
	v_fmac_f16_e32 v65, v3, v18
	v_fmac_f16_e32 v91, v114, v19
	v_lshrrev_b32_e32 v19, 16, v86
	v_lshrrev_b32_e32 v3, 16, v21
	;; [unrolled: 1-line block ×4, first 2 shown]
	v_mul_f16_e32 v15, v17, v1
	v_fma_f16 v115, v6, v16, -v2
	v_mul_f16_e32 v6, v19, v3
	v_fma_f16 v61, v61, v18, -v0
	;; [unrolled: 2-line block ×5, first 2 shown]
	v_lshrrev_b32_e32 v16, 16, v23
	s_wait_loadcnt 0x2
	v_lshrrev_b32_e32 v86, 16, v89
	v_mul_f16_e32 v0, v62, v114
	s_wait_dscnt 0x0
	v_lshrrev_b32_e32 v18, 16, v63
	v_lshrrev_b32_e32 v62, 16, v64
	v_fmac_f16_e32 v6, v19, v21
	v_mul_f16_e32 v7, v63, v16
	v_mul_f16_e32 v19, v64, v86
	v_fmac_f16_e32 v1, v17, v20
	v_mul_f16_e32 v16, v18, v16
	v_mul_f16_e32 v17, v62, v86
	v_fmac_f16_e32 v7, v18, v23
	v_fmac_f16_e32 v19, v62, v89
	v_add_f16_e32 v18, v67, v87
	v_fmac_f16_e32 v0, v60, v22
	v_fma_f16 v20, v64, v89, -v17
	v_add_f16_e32 v60, v66, v112
	v_sub_f16_e32 v62, v101, v19
	v_fma_f16 v18, -0.5, v18, v105
	v_fma_f16 v16, v63, v23, -v16
	v_sub_f16_e32 v21, v98, v67
	v_sub_f16_e32 v22, v20, v87
	v_fma_f16 v60, -0.5, v60, v102
	v_sub_f16_e32 v63, v98, v20
	v_fmamk_f16 v64, v62, 0x3b9c, v18
	v_fmac_f16_e32 v18, 0xbb9c, v62
	v_sub_f16_e32 v86, v66, v112
	v_add_f16_e32 v21, v21, v22
	v_sub_f16_e32 v22, v101, v66
	v_sub_f16_e32 v89, v19, v112
	v_fmamk_f16 v114, v63, 0xbb9c, v60
	v_fmac_f16_e32 v60, 0x3b9c, v63
	v_sub_f16_e32 v118, v67, v87
	v_fmac_f16_e32 v18, 0xb8b4, v86
	v_sub_f16_e32 v17, v104, v97
	v_sub_f16_e32 v23, v68, v96
	;; [unrolled: 1-line block ×3, first 2 shown]
	v_add_f16_e32 v22, v22, v89
	v_fmac_f16_e32 v60, 0x38b4, v118
	v_fmac_f16_e32 v18, 0x34f2, v21
	v_add_f16_e32 v23, v17, v23
	v_add_f16_e32 v89, v119, v120
	;; [unrolled: 1-line block ×3, first 2 shown]
	v_fmac_f16_e32 v60, 0x34f2, v22
	v_mul_f16_e32 v119, 0x3a79, v18
	v_lshrrev_b32_e32 v120, 16, v107
	v_add_f16_e32 v121, v100, v93
	v_fma_f16 v122, -0.5, v17, v107
	v_mul_f16_e32 v17, 0x3a79, v60
	v_fma_f16 v119, v60, 0x38b4, -v119
	v_sub_f16_e64 v128, v97, v96
	v_fma_f16 v60, -0.5, v121, v120
	v_sub_f16_e32 v121, v104, v68
	v_fma_f16 v126, v18, 0xb8b4, -v17
	v_lshlrev_b32_e32 v17, 2, v85
	v_add_f16_e32 v85, v107, v104
	v_sub_f16_e32 v123, v106, v113
	v_fmamk_f16 v127, v121, 0xbb9c, v60
	v_fmac_f16_e32 v60, 0x3b9c, v121
	v_add_f16_e64 v129, v120, v106
	v_add_f16_e32 v85, v85, v97
	v_fmac_f16_e32 v64, 0x38b4, v86
	v_fmac_f16_e64 v127, 0xb8b4, v128
	v_fmac_f16_e64 v60, 0x38b4, v128
	v_fmamk_f16 v124, v123, 0x3b9c, v122
	v_fmac_f16_e32 v122, 0xbb9c, v123
	v_sub_f16_e32 v125, v100, v93
	v_add_f16_e64 v129, v129, v100
	v_fmac_f16_e32 v60, 0x34f2, v89
	v_add_f16_e64 v130, v130, v67
	v_add_f16_e64 v131, v131, v66
	v_add_f16_e32 v85, v85, v96
	v_fmac_f16_e32 v127, 0x34f2, v89
	v_fmac_f16_e32 v64, 0x34f2, v21
	v_add_f16_e32 v21, v101, v19
	v_add_f16_e32 v89, v98, v20
	v_fmac_f16_e32 v122, 0xb8b4, v125
	v_add_f16_e64 v129, v129, v93
	v_add_f16_e64 v130, v130, v87
	;; [unrolled: 1-line block ×3, first 2 shown]
	v_add_f16_e32 v85, v85, v68
	v_sub_f16_e32 v97, v97, v104
	v_fmac_f16_e32 v124, 0x38b4, v125
	v_add_f16_e32 v104, v104, v68
	v_sub_f16_e32 v68, v96, v68
	v_fmac_f16_e32 v114, 0xb8b4, v118
	v_fmac_f16_e32 v102, -0.5, v21
	v_fmac_f16_e32 v105, -0.5, v89
	s_wait_alu 0xf1ff
	v_cndmask_b32_e64 v18, 0, 0xbb8, s0
	v_fmac_f16_e32 v122, 0x34f2, v23
	v_add_f16_e64 v129, v129, v113
	v_add_f16_e64 v130, v130, v20
	v_add_f16_e64 v131, v131, v19
	v_fmac_f16_e32 v124, 0x34f2, v23
	v_add_f16_e32 v23, v97, v68
	v_add_f16_e32 v68, v106, v113
	v_sub_f16_e32 v67, v67, v98
	v_sub_f16_e32 v20, v87, v20
	;; [unrolled: 1-line block ×4, first 2 shown]
	v_fmac_f16_e32 v114, 0x34f2, v22
	v_fmamk_f16 v22, v118, 0x3b9c, v102
	v_fmamk_f16 v66, v86, 0xbb9c, v105
	v_fmac_f16_e32 v105, 0x3b9c, v86
	v_fmac_f16_e32 v102, 0xbb9c, v118
	v_add_f16_e64 v132, v122, v119
	v_add_f16_e64 v133, v60, v126
	v_add3_u32 v134, 0, v18, v17
	v_sub_f16_e64 v17, v85, v130
	v_sub_f16_e64 v18, v129, v131
	v_fmac_f16_e32 v107, -0.5, v104
	v_add_f16_e32 v20, v67, v20
	v_add_f16_e32 v19, v21, v19
	v_fmac_f16_e32 v22, 0xb8b4, v63
	v_fmac_f16_e32 v66, 0x38b4, v62
	v_fmac_f16_e32 v120, -0.5, v68
	v_mul_f16_e32 v21, 0x38b4, v114
	v_fmac_f16_e32 v105, 0xb8b4, v62
	v_fmac_f16_e32 v102, 0x38b4, v63
	v_pack_b32_f16 v132, v132, v133
	v_pack_b32_f16 v133, v17, v18
	ds_load_2addr_b32 v[17:18], v59 offset0:44 offset1:169
	v_sub_f16_e32 v59, v100, v106
	v_sub_f16_e32 v93, v93, v113
	v_fmac_f16_e32 v22, 0x34f2, v19
	v_fmac_f16_e32 v66, 0x34f2, v20
	v_fmamk_f16 v67, v125, 0xbb9c, v107
	v_fma_f16 v68, 0x3b9c, v128, v120
	v_fmac_f16_e32 v21, 0x3a79, v64
	v_mul_f16_e32 v64, 0xb8b4, v64
	v_fmac_f16_e32 v107, 0x3b9c, v125
	v_fmac_f16_e64 v120, 0xbb9c, v128
	v_fmac_f16_e32 v105, 0x34f2, v20
	v_fmac_f16_e32 v102, 0x34f2, v19
	v_add_f16_e32 v59, v59, v93
	v_mul_f16_e32 v87, 0x3b9c, v22
	v_mul_f16_e32 v89, 0xbb9c, v66
	v_fmac_f16_e32 v67, 0x38b4, v123
	v_fmac_f16_e32 v68, 0xb8b4, v121
	;; [unrolled: 1-line block ×5, first 2 shown]
	v_mul_f16_e32 v20, 0x34f2, v105
	v_mul_f16_e32 v63, 0x34f2, v102
	v_fmac_f16_e32 v87, 0x34f2, v66
	v_fmac_f16_e32 v89, 0x34f2, v22
	;; [unrolled: 1-line block ×4, first 2 shown]
	v_sub_f16_e32 v22, v124, v21
	v_add_f16_e32 v21, v124, v21
	v_add_f16_e32 v19, v127, v64
	v_fmac_f16_e32 v107, 0x34f2, v23
	v_fmac_f16_e32 v120, 0x34f2, v59
	v_fma_f16 v20, v102, 0x3b9c, -v20
	v_fma_f16 v23, v105, 0xbb9c, -v63
	v_sub_f16_e32 v66, v127, v64
	v_sub_f16_e32 v93, v67, v87
	;; [unrolled: 1-line block ×3, first 2 shown]
	v_add_f16_e64 v85, v85, v130
	v_add_f16_e64 v62, v129, v131
	v_add_nc_u32_e32 v97, 0x400, v134
	v_pack_b32_f16 v19, v21, v19
	v_add_f16_e32 v21, v67, v87
	v_add_f16_e32 v59, v68, v89
	;; [unrolled: 1-line block ×4, first 2 shown]
	v_pack_b32_f16 v22, v22, v66
	v_pack_b32_f16 v66, v93, v96
	v_add_nc_u32_e32 v86, 0x600, v134
	v_pack_b32_f16 v62, v85, v62
	global_wb scope:SCOPE_SE
	s_wait_loadcnt_dscnt 0x0
	s_barrier_signal -1
	s_barrier_wait -1
	global_inv scope:SCOPE_SE
	ds_store_2addr_b32 v97, v132, v133 offset0:44 offset1:119
	ds_store_2addr_b32 v86, v22, v66 offset0:66 offset1:141
	ds_store_2addr_b32 v134, v62, v19 offset1:75
	v_pack_b32_f16 v19, v21, v59
	v_pack_b32_f16 v21, v63, v64
	v_sub_f16_e32 v20, v107, v20
	v_sub_f16_e32 v22, v122, v119
	;; [unrolled: 1-line block ×4, first 2 shown]
	ds_store_2addr_b32 v134, v19, v21 offset0:150 offset1:225
	v_lshrrev_b32_e32 v19, 16, v108
	v_lshrrev_b32_e32 v21, 16, v17
	v_pack_b32_f16 v20, v20, v23
	v_pack_b32_f16 v22, v22, v59
	v_add_nc_u32_e32 v23, 0x800, v134
	v_mul_f16_e32 v59, v17, v19
	v_mul_f16_e32 v19, v21, v19
	v_lshrrev_b32_e32 v60, 16, v18
	v_lshrrev_b32_e32 v62, 16, v103
	ds_store_2addr_b32 v23, v20, v22 offset0:88 offset1:163
	v_sub_f16_e32 v22, v111, v99
	v_fma_f16 v17, v17, v108, -v19
	v_add_f16_e32 v19, v99, v90
	v_mul_f16_e32 v20, v60, v62
	v_sub_f16_e32 v23, v116, v90
	v_fmac_f16_e32 v59, v21, v108
	v_mul_f16_e32 v21, v18, v62
	v_fma_f16 v19, -0.5, v19, v92
	v_sub_f16_e32 v62, v110, v91
	v_fma_f16 v18, v18, v103, -v20
	v_add_f16_e32 v20, v22, v23
	v_add_f16_e32 v22, v111, v116
	;; [unrolled: 1-line block ×3, first 2 shown]
	v_fmac_f16_e32 v21, v60, v103
	v_fmamk_f16 v23, v62, 0x3b9c, v19
	v_sub_f16_e32 v60, v109, v94
	v_lshrrev_b32_e32 v63, 16, v92
	v_fmac_f16_e32 v92, -0.5, v22
	v_fmac_f16_e32 v19, 0xbb9c, v62
	v_add_f16_e32 v64, v64, v99
	v_fmac_f16_e32 v23, 0x38b4, v60
	v_sub_f16_e32 v22, v99, v111
	v_fmamk_f16 v67, v60, 0xbb9c, v92
	v_fmac_f16_e32 v92, 0x3b9c, v60
	v_fmac_f16_e32 v19, 0xb8b4, v60
	v_add_f16_e32 v60, v64, v90
	v_sub_f16_e32 v66, v90, v116
	v_fmac_f16_e32 v23, 0x34f2, v20
	v_fmac_f16_e32 v67, 0x38b4, v62
	;; [unrolled: 1-line block ×3, first 2 shown]
	v_add_f16_e32 v20, v60, v116
	v_add_f16_e32 v60, v109, v94
	v_add_f16_e32 v22, v22, v66
	v_fmac_f16_e32 v92, 0xb8b4, v62
	v_sub_f16_e32 v62, v111, v116
	v_sub_f16_e32 v64, v110, v109
	;; [unrolled: 1-line block ×3, first 2 shown]
	v_fma_f16 v60, -0.5, v60, v63
	v_add_f16_e32 v85, v110, v91
	v_fmac_f16_e32 v67, 0x34f2, v22
	v_fmac_f16_e32 v92, 0x34f2, v22
	v_add_f16_e32 v22, v63, v110
	v_sub_f16_e32 v68, v99, v90
	v_add_f16_e32 v64, v64, v66
	v_fmamk_f16 v66, v62, 0xbb9c, v60
	v_fmac_f16_e32 v60, 0x3b9c, v62
	v_fmac_f16_e32 v63, -0.5, v85
	v_add_f16_e32 v22, v22, v109
	v_sub_f16_e32 v85, v109, v110
	v_fmac_f16_e32 v66, 0xb8b4, v68
	v_fmac_f16_e32 v60, 0x38b4, v68
	v_sub_f16_e32 v86, v94, v91
	v_fmamk_f16 v87, v68, 0x3b9c, v63
	v_fmac_f16_e32 v63, 0xbb9c, v68
	v_add_f16_e32 v22, v22, v94
	v_fmac_f16_e32 v66, 0x34f2, v64
	v_fmac_f16_e32 v60, 0x34f2, v64
	v_add_f16_e32 v64, v115, v61
	v_add_f16_e32 v68, v85, v86
	v_fmac_f16_e32 v87, 0xb8b4, v62
	v_sub_f16_e32 v85, v95, v115
	v_sub_f16_e32 v86, v17, v61
	v_fmac_f16_e32 v63, 0x38b4, v62
	v_add_f16_e32 v62, v95, v17
	v_add_f16_e32 v22, v22, v91
	v_fma_f16 v64, -0.5, v64, v41
	v_add_f16_e32 v85, v85, v86
	v_add_f16_e32 v86, v41, v95
	v_sub_f16_e32 v91, v117, v65
	v_fmac_f16_e32 v41, -0.5, v62
	v_sub_f16_e32 v89, v42, v59
	v_sub_f16_e32 v62, v115, v95
	v_sub_f16_e32 v93, v61, v17
	v_add_f16_e32 v86, v86, v115
	v_fmamk_f16 v94, v91, 0xbb9c, v41
	v_fmac_f16_e32 v41, 0x3b9c, v91
	v_fmamk_f16 v90, v89, 0x3b9c, v64
	v_fmac_f16_e32 v64, 0xbb9c, v89
	v_add_f16_e32 v62, v62, v93
	v_fmac_f16_e32 v94, 0x38b4, v89
	v_fmac_f16_e32 v41, 0xb8b4, v89
	;; [unrolled: 1-line block ×4, first 2 shown]
	v_add_f16_e32 v68, v86, v61
	v_fmac_f16_e32 v90, 0x38b4, v91
	v_fmac_f16_e32 v64, 0xb8b4, v91
	;; [unrolled: 1-line block ×4, first 2 shown]
	v_add_f16_e32 v62, v68, v17
	v_add_f16_e32 v68, v117, v65
	v_fmac_f16_e32 v90, 0x34f2, v85
	v_fmac_f16_e32 v64, 0x34f2, v85
	v_sub_f16_e32 v17, v95, v17
	v_add_f16_e32 v85, v42, v59
	v_add_f16_e32 v86, v14, v42
	v_fma_f16 v68, -0.5, v68, v14
	v_sub_f16_e32 v61, v115, v61
	v_sub_f16_e32 v89, v42, v117
	;; [unrolled: 1-line block ×3, first 2 shown]
	v_fmac_f16_e32 v14, -0.5, v85
	v_add_f16_e32 v85, v86, v117
	v_fmamk_f16 v86, v17, 0xbb9c, v68
	v_fmac_f16_e32 v68, 0x3b9c, v17
	v_add_f16_e32 v89, v89, v91
	v_sub_f16_e32 v42, v117, v42
	v_sub_f16_e32 v93, v65, v59
	v_fmac_f16_e32 v86, 0xb8b4, v61
	v_fmamk_f16 v95, v61, 0x3b9c, v14
	v_fmac_f16_e32 v14, 0xbb9c, v61
	v_fmac_f16_e32 v68, 0x38b4, v61
	v_add_f16_e32 v42, v42, v93
	v_fmac_f16_e32 v86, 0x34f2, v89
	v_fmac_f16_e32 v95, 0xb8b4, v17
	;; [unrolled: 1-line block ×4, first 2 shown]
	v_add_f16_e32 v65, v85, v65
	v_mul_f16_e32 v17, 0x38b4, v86
	v_fmac_f16_e32 v95, 0x34f2, v42
	v_mul_f16_e32 v61, 0xb8b4, v90
	v_fmac_f16_e32 v14, 0x34f2, v42
	v_mul_f16_e32 v42, 0xbb9c, v94
	v_fmac_f16_e32 v17, 0x3a79, v90
	v_mul_f16_e32 v89, 0x3a79, v64
	v_mul_f16_e32 v90, 0x3a79, v68
	v_add_f16_e32 v59, v65, v59
	v_mul_f16_e32 v65, 0x3b9c, v95
	v_fmac_f16_e32 v61, 0x3a79, v86
	v_mul_f16_e32 v85, 0x34f2, v41
	v_mul_f16_e32 v86, 0x34f2, v14
	v_fmac_f16_e32 v42, 0x34f2, v95
	v_fma_f16 v68, v68, 0x38b4, -v89
	v_fma_f16 v64, v64, 0xb8b4, -v90
	v_sub_f16_e32 v89, v13, v5
	v_sub_f16_e32 v90, v16, v15
	v_fmac_f16_e32 v65, 0x34f2, v94
	v_fma_f16 v14, v14, 0x3b9c, -v85
	v_fma_f16 v41, v41, 0xbb9c, -v86
	v_add_f16_e32 v86, v19, v68
	v_sub_f16_e32 v19, v19, v68
	v_add_f16_e32 v68, v22, v59
	v_sub_f16_e32 v22, v22, v59
	;; [unrolled: 2-line block ×4, first 2 shown]
	v_add_f16_e32 v87, v5, v15
	v_add_f16_e32 v89, v89, v90
	;; [unrolled: 1-line block ×4, first 2 shown]
	v_sub_f16_e32 v20, v20, v62
	v_add_f16_e32 v62, v23, v17
	v_sub_f16_e32 v17, v23, v17
	v_add_f16_e32 v23, v67, v65
	;; [unrolled: 2-line block ×4, first 2 shown]
	v_sub_f16_e32 v41, v63, v41
	v_fma_f16 v63, -0.5, v87, v88
	v_sub_f16_e32 v87, v12, v7
	v_lshrrev_b32_e32 v92, 16, v88
	v_add_f16_e32 v93, v88, v13
	v_sub_f16_e32 v95, v4, v6
	v_fmac_f16_e32 v88, -0.5, v90
	v_fmamk_f16 v94, v87, 0x3b9c, v63
	v_fmac_f16_e32 v63, 0xbb9c, v87
	v_sub_f16_e32 v90, v5, v13
	v_sub_f16_e32 v96, v15, v16
	v_fmamk_f16 v97, v95, 0xbb9c, v88
	v_fmac_f16_e32 v88, 0x3b9c, v95
	v_fmac_f16_e32 v94, 0x38b4, v95
	;; [unrolled: 1-line block ×3, first 2 shown]
	v_add_f16_e32 v90, v90, v96
	v_add_f16_e32 v93, v93, v5
	v_fmac_f16_e32 v97, 0x38b4, v87
	v_fmac_f16_e32 v88, 0xb8b4, v87
	v_add_f16_e32 v87, v60, v64
	v_sub_f16_e32 v60, v60, v64
	v_add_f16_e32 v64, v93, v15
	v_fmac_f16_e32 v94, 0x34f2, v89
	v_fmac_f16_e32 v63, 0x34f2, v89
	;; [unrolled: 1-line block ×4, first 2 shown]
	v_add_f16_e32 v89, v92, v12
	v_add_f16_e32 v90, v4, v6
	;; [unrolled: 1-line block ×3, first 2 shown]
	v_sub_f16_e32 v13, v13, v16
	v_sub_f16_e32 v16, v12, v4
	;; [unrolled: 1-line block ×3, first 2 shown]
	v_add_f16_e32 v89, v89, v4
	v_fma_f16 v90, -0.5, v90, v92
	v_sub_f16_e32 v5, v5, v15
	v_add_f16_e32 v15, v12, v7
	v_add_f16_e32 v16, v16, v93
	;; [unrolled: 1-line block ×3, first 2 shown]
	v_fmamk_f16 v93, v13, 0xbb9c, v90
	v_fmac_f16_e32 v90, 0x3b9c, v13
	v_fmac_f16_e32 v92, -0.5, v15
	v_sub_f16_e32 v4, v4, v12
	v_add_f16_e32 v12, v89, v7
	v_fmac_f16_e32 v93, 0xb8b4, v5
	v_fmac_f16_e32 v90, 0x38b4, v5
	v_sub_f16_e32 v6, v6, v7
	v_fmamk_f16 v7, v5, 0x3b9c, v92
	v_fmac_f16_e32 v92, 0xbb9c, v5
	v_add_f16_e32 v5, v2, v3
	v_fmac_f16_e32 v93, 0x34f2, v16
	v_fmac_f16_e32 v90, 0x34f2, v16
	v_add_f16_e32 v4, v4, v6
	v_fmac_f16_e32 v7, 0xb8b4, v13
	v_sub_f16_e32 v6, v11, v2
	v_sub_f16_e32 v15, v18, v3
	v_fma_f16 v5, -0.5, v5, v8
	v_sub_f16_e32 v16, v10, v21
	v_fmac_f16_e32 v92, 0x38b4, v13
	v_add_f16_e32 v13, v11, v18
	v_add_f16_e32 v6, v6, v15
	;; [unrolled: 1-line block ×3, first 2 shown]
	v_fmamk_f16 v89, v16, 0x3b9c, v5
	v_sub_f16_e32 v95, v1, v0
	v_fmac_f16_e32 v8, -0.5, v13
	v_fmac_f16_e32 v5, 0xbb9c, v16
	v_sub_f16_e32 v13, v2, v11
	v_sub_f16_e32 v96, v3, v18
	v_fmac_f16_e32 v89, 0x38b4, v95
	v_fmamk_f16 v98, v95, 0xbb9c, v8
	v_fmac_f16_e32 v8, 0x3b9c, v95
	v_fmac_f16_e32 v5, 0xb8b4, v95
	v_add_f16_e32 v15, v15, v2
	v_add_f16_e32 v13, v13, v96
	v_fmac_f16_e32 v98, 0x38b4, v16
	v_fmac_f16_e32 v8, 0xb8b4, v16
	;; [unrolled: 1-line block ×4, first 2 shown]
	v_add_f16_e32 v4, v15, v3
	v_fmac_f16_e32 v89, 0x34f2, v6
	v_fmac_f16_e32 v5, 0x34f2, v6
	v_sub_f16_e32 v6, v11, v18
	v_add_f16_e32 v11, v1, v0
	v_sub_f16_e32 v2, v2, v3
	v_add_f16_e32 v3, v10, v21
	v_fmac_f16_e32 v98, 0x34f2, v13
	v_fmac_f16_e32 v8, 0x34f2, v13
	v_add_f16_e32 v13, v9, v10
	v_fma_f16 v11, -0.5, v11, v9
	v_fmac_f16_e32 v9, -0.5, v3
	v_add_f16_e32 v4, v4, v18
	v_sub_f16_e32 v15, v10, v1
	v_add_f16_e32 v3, v13, v1
	v_sub_f16_e32 v1, v1, v10
	v_sub_f16_e32 v13, v0, v21
	v_fmamk_f16 v18, v2, 0x3b9c, v9
	v_fmac_f16_e32 v9, 0xbb9c, v2
	v_sub_f16_e32 v16, v21, v0
	v_fmamk_f16 v10, v6, 0xbb9c, v11
	v_add_f16_e32 v1, v1, v13
	v_fmac_f16_e32 v18, 0xb8b4, v6
	v_fmac_f16_e32 v9, 0x38b4, v6
	v_add_f16_e32 v15, v15, v16
	v_add_f16_e32 v0, v3, v0
	v_fmac_f16_e32 v10, 0xb8b4, v2
	v_fmac_f16_e32 v11, 0x3b9c, v6
	;; [unrolled: 1-line block ×4, first 2 shown]
	v_mul_f16_e32 v1, 0xbb9c, v98
	v_fmac_f16_e32 v10, 0x34f2, v15
	v_add_f16_e32 v0, v0, v21
	v_fmac_f16_e32 v11, 0x38b4, v2
	v_mul_f16_e32 v3, 0xb8b4, v89
	v_mul_f16_e32 v6, 0x3b9c, v18
	v_fmac_f16_e32 v1, 0x34f2, v18
	v_and_b32_e32 v18, 0xffff, v39
	v_mul_f16_e32 v2, 0x38b4, v10
	v_fmac_f16_e32 v11, 0x34f2, v15
	v_fmac_f16_e32 v3, 0x3a79, v10
	v_mul_f16_e32 v10, 0x34f2, v8
	v_mul_f16_e32 v15, 0x3a79, v5
	v_add_f16_e32 v39, v12, v0
	v_sub_f16_e32 v0, v12, v0
	v_mul_u32_u24_e32 v12, 0xbb8, v18
	v_lshlrev_b32_e32 v18, 2, v84
	v_mul_f16_e32 v13, 0x34f2, v9
	v_mul_f16_e32 v16, 0x3a79, v11
	v_fma_f16 v9, v9, 0x3b9c, -v10
	v_fma_f16 v10, v11, 0x38b4, -v15
	v_add_f16_e32 v11, v64, v4
	v_sub_f16_e32 v4, v64, v4
	v_add_f16_e32 v64, v7, v1
	v_sub_f16_e32 v1, v7, v1
	v_add3_u32 v7, 0, v12, v18
	v_pack_b32_f16 v12, v85, v68
	v_pack_b32_f16 v18, v62, v59
	v_fmac_f16_e32 v2, 0x3a79, v89
	v_fmac_f16_e32 v6, 0x34f2, v98
	v_fma_f16 v8, v8, 0xbb9c, -v13
	v_add_f16_e32 v21, v63, v10
	ds_store_2addr_b32 v7, v12, v18 offset1:75
	v_pack_b32_f16 v12, v23, v66
	v_and_b32_e32 v66, 0xffff, v83
	v_add_f16_e32 v13, v94, v2
	v_sub_f16_e32 v2, v94, v2
	v_add_f16_e32 v15, v97, v6
	v_sub_f16_e32 v6, v97, v6
	v_sub_f16_e32 v10, v63, v10
	v_add_f16_e32 v63, v93, v3
	v_sub_f16_e32 v3, v93, v3
	v_pack_b32_f16 v11, v11, v39
	v_lshlrev_b32_e32 v39, 2, v28
	v_fma_f16 v5, v5, 0xb8b4, -v16
	v_pack_b32_f16 v17, v17, v61
	v_pack_b32_f16 v42, v65, v42
	v_mul_u32_u24_e32 v61, 0xbb8, v66
	v_lshlrev_b32_e32 v65, 2, v82
	v_add_f16_e32 v16, v88, v9
	v_add_f16_e32 v59, v92, v8
	v_pack_b32_f16 v18, v67, v91
	v_pack_b32_f16 v4, v4, v0
	;; [unrolled: 1-line block ×4, first 2 shown]
	v_lshlrev_b64_e32 v[0:1], 2, v[39:40]
	v_add_f16_e32 v62, v90, v5
	v_pack_b32_f16 v23, v86, v87
	v_pack_b32_f16 v20, v20, v22
	v_add_nc_u32_e32 v22, 0x400, v7
	v_pack_b32_f16 v19, v19, v60
	v_add3_u32 v60, 0, v61, v65
	v_add_nc_u32_e32 v66, 0x600, v7
	v_sub_f16_e32 v9, v88, v9
	v_sub_f16_e32 v8, v92, v8
	;; [unrolled: 1-line block ×3, first 2 shown]
	v_pack_b32_f16 v14, v14, v41
	v_add_nc_u32_e32 v41, 0x800, v7
	v_pack_b32_f16 v13, v13, v63
	ds_store_2addr_b32 v7, v12, v18 offset0:150 offset1:225
	ds_store_2addr_b32 v22, v23, v20 offset0:44 offset1:119
	;; [unrolled: 1-line block ×4, first 2 shown]
	ds_store_2addr_b32 v60, v11, v13 offset1:75
	v_pack_b32_f16 v7, v15, v64
	v_pack_b32_f16 v11, v16, v59
	v_lshlrev_b32_e32 v39, 2, v37
	v_pack_b32_f16 v12, v21, v62
	v_add_nc_u32_e32 v13, 0x400, v60
	v_add_co_u32 v0, s0, s8, v0
	v_add_nc_u32_e32 v6, 0x600, v60
	v_pack_b32_f16 v8, v9, v8
	v_pack_b32_f16 v5, v10, v5
	v_add_nc_u32_e32 v9, 0x800, v60
	s_wait_alu 0xf1ff
	v_add_co_ci_u32_e64 v1, s0, s9, v1, s0
	ds_store_2addr_b32 v60, v7, v11 offset0:150 offset1:225
	ds_store_2addr_b32 v13, v12, v4 offset0:44 offset1:119
	;; [unrolled: 1-line block ×4, first 2 shown]
	v_lshlrev_b64_e32 v[4:5], 2, v[39:40]
	global_wb scope:SCOPE_SE
	s_wait_dscnt 0x0
	s_barrier_signal -1
	s_barrier_wait -1
	global_inv scope:SCOPE_SE
	global_load_b128 v[0:3], v[0:1], off offset:2988
	v_add_co_u32 v4, s0, s8, v4
	s_wait_alu 0xf1ff
	v_add_co_ci_u32_e64 v5, s0, s9, v5, s0
	v_lshlrev_b32_e32 v39, 2, v36
	global_load_b128 v[4:7], v[4:5], off offset:2988
	v_lshlrev_b64_e32 v[8:9], 2, v[39:40]
	v_lshlrev_b32_e32 v39, 2, v35
	s_delay_alu instid0(VALU_DEP_2) | instskip(SKIP_1) | instid1(VALU_DEP_3)
	v_add_co_u32 v8, s0, s8, v8
	s_wait_alu 0xf1ff
	v_add_co_ci_u32_e64 v9, s0, s9, v9, s0
	s_delay_alu instid0(VALU_DEP_3)
	v_lshlrev_b64_e32 v[12:13], 2, v[39:40]
	v_mov_b32_e32 v39, v40
	global_load_b128 v[8:11], v[8:9], off offset:2988
	v_add_co_u32 v12, s0, s8, v12
	s_wait_alu 0xf1ff
	v_add_co_ci_u32_e64 v13, s0, s9, v13, s0
	global_load_b128 v[59:62], v[12:13], off offset:2988
	v_lshlrev_b64_e32 v[12:13], 2, v[38:39]
	v_lshlrev_b32_e32 v39, 2, v34
	s_delay_alu instid0(VALU_DEP_2) | instskip(SKIP_1) | instid1(VALU_DEP_3)
	v_add_co_u32 v12, s0, s8, v12
	s_wait_alu 0xf1ff
	v_add_co_ci_u32_e64 v13, s0, s9, v13, s0
	global_load_b128 v[91:94], v[12:13], off offset:2988
	v_lshlrev_b64_e32 v[12:13], 2, v[39:40]
	s_delay_alu instid0(VALU_DEP_1) | instskip(SKIP_1) | instid1(VALU_DEP_2)
	v_add_co_u32 v12, s0, s8, v12
	s_wait_alu 0xf1ff
	v_add_co_ci_u32_e64 v13, s0, s9, v13, s0
	global_load_b128 v[95:98], v[12:13], off offset:2988
	ds_load_2addr_b32 v[12:13], v77 offset0:107 offset1:232
	ds_load_2addr_b32 v[14:15], v78 offset0:89 offset1:214
	;; [unrolled: 1-line block ×4, first 2 shown]
	s_wait_dscnt 0x3
	v_lshrrev_b32_e32 v20, 16, v12
	s_wait_dscnt 0x2
	v_lshrrev_b32_e32 v21, 16, v14
	;; [unrolled: 2-line block ×4, first 2 shown]
	v_lshrrev_b32_e32 v41, 16, v13
	v_lshrrev_b32_e32 v63, 16, v15
	s_wait_loadcnt 0x5
	v_lshrrev_b32_e32 v39, 16, v0
	v_lshrrev_b32_e32 v42, 16, v1
	;; [unrolled: 1-line block ×4, first 2 shown]
	s_delay_alu instid0(VALU_DEP_4)
	v_mul_f16_e32 v65, v20, v39
	v_mul_f16_e32 v78, v12, v39
	;; [unrolled: 1-line block ×5, first 2 shown]
	v_fma_f16 v77, v12, v0, -v65
	v_fmac_f16_e32 v78, v20, v0
	v_fma_f16 v89, v14, v1, -v39
	v_mul_f16_e32 v0, v22, v64
	v_fmac_f16_e32 v79, v21, v1
	v_mul_f16_e32 v1, v23, v66
	s_wait_loadcnt 0x4
	v_lshrrev_b32_e32 v12, 16, v4
	v_mul_f16_e32 v99, v18, v66
	v_fma_f16 v100, v16, v2, -v0
	v_fmac_f16_e32 v84, v22, v2
	v_fma_f16 v101, v18, v3, -v1
	ds_load_2addr_b32 v[0:1], v76 offset0:101 offset1:226
	v_mul_f16_e32 v16, v41, v12
	v_fmac_f16_e32 v99, v23, v3
	v_lshrrev_b32_e32 v14, 16, v5
	ds_load_2addr_b32 v[2:3], v75 offset0:83 offset1:208
	ds_load_2addr_b32 v[21:22], v74 offset0:65 offset1:190
	v_fma_f16 v88, v13, v4, -v16
	v_mul_f16_e32 v80, v13, v12
	ds_load_2addr_b32 v[12:13], v73 offset0:47 offset1:172
	v_lshrrev_b32_e32 v18, 16, v17
	v_lshrrev_b32_e32 v20, 16, v6
	v_mul_f16_e32 v23, v63, v14
	v_mul_f16_e32 v83, v15, v14
	v_lshrrev_b32_e32 v39, 16, v19
	v_lshrrev_b32_e32 v42, 16, v7
	v_mul_f16_e32 v16, v18, v20
	v_fma_f16 v86, v15, v5, -v23
	v_mul_f16_e32 v82, v17, v20
	v_fmac_f16_e32 v83, v63, v5
	s_wait_loadcnt 0x3
	v_lshrrev_b32_e32 v5, 16, v8
	v_mul_f16_e32 v23, v39, v42
	v_fma_f16 v87, v17, v6, -v16
	v_mul_f16_e32 v85, v19, v42
	s_wait_dscnt 0x3
	v_lshrrev_b32_e32 v14, 16, v0
	v_fmac_f16_e32 v82, v18, v6
	v_lshrrev_b32_e32 v6, 16, v9
	v_mul_f16_e32 v64, v0, v5
	v_lshrrev_b32_e32 v15, 16, v10
	ds_load_b32 v20, v72
	v_fma_f16 v90, v19, v7, -v23
	v_fmac_f16_e32 v80, v41, v4
	s_wait_dscnt 0x3
	v_lshrrev_b32_e32 v4, 16, v2
	v_fmac_f16_e32 v85, v39, v7
	s_wait_dscnt 0x2
	v_lshrrev_b32_e32 v7, 16, v21
	v_lshrrev_b32_e32 v16, 16, v11
	v_mul_f16_e32 v66, v2, v6
	v_mul_f16_e32 v5, v14, v5
	v_fmac_f16_e32 v64, v14, v8
	v_mul_f16_e32 v65, v21, v15
	s_wait_dscnt 0x1
	v_lshrrev_b32_e32 v14, 16, v12
	v_mul_f16_e32 v6, v4, v6
	v_fmac_f16_e32 v66, v4, v9
	v_mul_f16_e32 v4, v7, v15
	v_mul_f16_e32 v67, v12, v16
	v_fmac_f16_e32 v65, v7, v10
	v_mul_f16_e32 v7, v14, v16
	v_lshrrev_b32_e32 v16, 16, v1
	s_wait_loadcnt 0x2
	v_lshrrev_b32_e32 v15, 16, v59
	v_fma_f16 v75, v0, v8, -v5
	v_fma_f16 v73, v2, v9, -v6
	;; [unrolled: 1-line block ×3, first 2 shown]
	v_lshrrev_b32_e32 v5, 16, v3
	v_mul_f16_e32 v0, v16, v15
	v_lshrrev_b32_e32 v2, 16, v60
	v_fma_f16 v76, v12, v11, -v7
	v_lshrrev_b32_e32 v18, 16, v22
	v_lshrrev_b32_e32 v4, 16, v61
	ds_load_2addr_b32 v[6:7], v71 offset0:95 offset1:220
	ds_load_2addr_b32 v[8:9], v70 offset0:77 offset1:202
	v_fma_f16 v17, v1, v59, -v0
	v_mul_f16_e32 v0, v5, v2
	v_mul_f16_e32 v12, v1, v15
	;; [unrolled: 1-line block ×3, first 2 shown]
	v_lshrrev_b32_e32 v23, 16, v13
	v_lshrrev_b32_e32 v39, 16, v62
	v_mul_f16_e32 v15, v3, v2
	s_wait_loadcnt 0x1
	v_lshrrev_b32_e32 v41, 16, v91
	s_wait_dscnt 0x2
	v_lshrrev_b32_e32 v63, 16, v20
	v_fmac_f16_e32 v67, v14, v11
	v_fma_f16 v19, v3, v60, -v0
	v_fma_f16 v21, v22, v61, -v1
	v_mul_f16_e32 v14, v22, v4
	ds_load_2addr_b32 v[10:11], v69 offset0:59 offset1:184
	ds_load_b32 v4, v58
	ds_load_b32 v3, v57
	;; [unrolled: 1-line block ×5, first 2 shown]
	ds_load_b32 v42, v43 offset:14500
	v_mul_f16_e32 v22, v23, v39
	v_fmac_f16_e32 v15, v5, v60
	v_mul_f16_e32 v5, v41, v63
	v_mul_f16_e32 v39, v13, v39
	v_fmac_f16_e32 v12, v16, v59
	v_fmac_f16_e32 v14, v18, v61
	v_fma_f16 v59, v13, v62, -v22
	v_mul_f16_e32 v61, v41, v20
	v_lshrrev_b32_e32 v13, 16, v92
	v_fma_f16 v60, v91, v20, -v5
	s_wait_dscnt 0x8
	v_lshrrev_b32_e32 v5, 16, v7
	v_lshrrev_b32_e32 v16, 16, v93
	v_fmac_f16_e32 v39, v23, v62
	v_fmac_f16_e32 v61, v91, v63
	v_mul_f16_e32 v62, v13, v7
	v_lshrrev_b32_e32 v18, 16, v94
	v_mul_f16_e32 v13, v13, v5
	s_wait_dscnt 0x7
	v_lshrrev_b32_e32 v20, 16, v9
	v_mul_f16_e32 v63, v16, v9
	s_wait_dscnt 0x6
	v_lshrrev_b32_e32 v22, 16, v11
	v_mul_f16_e32 v68, v11, v18
	v_fmac_f16_e32 v62, v92, v5
	v_mul_f16_e32 v5, v16, v20
	v_fmac_f16_e32 v63, v93, v20
	v_mul_f16_e32 v16, v22, v18
	v_lshrrev_b32_e32 v20, 16, v6
	s_wait_loadcnt 0x0
	v_lshrrev_b32_e32 v18, 16, v95
	v_fma_f16 v69, v92, v7, -v13
	v_lshrrev_b32_e32 v23, 16, v8
	v_lshrrev_b32_e32 v7, 16, v96
	;; [unrolled: 1-line block ×4, first 2 shown]
	v_fma_f16 v70, v93, v9, -v5
	v_mul_f16_e32 v9, v20, v18
	ds_load_b32 v5, v43
	v_mul_f16_e32 v13, v23, v7
	v_fma_f16 v72, v11, v94, -v16
	v_mul_f16_e32 v11, v41, v71
	v_fmac_f16_e32 v68, v22, v94
	v_fma_f16 v22, v6, v95, -v9
	v_mul_f16_e32 v9, v6, v18
	v_fma_f16 v16, v8, v96, -v13
	v_mul_f16_e32 v13, v8, v7
	v_mul_f16_e32 v7, v10, v71
	v_fma_f16 v18, v10, v97, -v11
	s_wait_dscnt 0x1
	v_lshrrev_b32_e32 v10, 16, v42
	v_lshrrev_b32_e32 v6, 16, v98
	v_fmac_f16_e32 v9, v20, v95
	v_fmac_f16_e32 v13, v23, v96
	;; [unrolled: 1-line block ×3, first 2 shown]
	v_add_f16_e32 v11, v69, v70
	v_mul_f16_e32 v20, v10, v6
	v_mul_f16_e32 v8, v42, v6
	v_sub_f16_e32 v23, v60, v69
	v_sub_f16_e32 v71, v72, v70
	s_wait_dscnt 0x0
	v_fma_f16 v6, -0.5, v11, v5
	v_fma_f16 v41, v42, v98, -v20
	v_add_f16_e32 v20, v60, v72
	v_sub_f16_e32 v91, v61, v68
	v_fmac_f16_e32 v8, v10, v98
	v_add_f16_e32 v23, v23, v71
	v_sub_f16_e32 v42, v62, v63
	v_lshrrev_b32_e32 v10, 16, v5
	v_add_f16_e32 v71, v5, v60
	v_fmac_f16_e32 v5, -0.5, v20
	v_fmamk_f16 v11, v91, 0x3b9c, v6
	v_fmac_f16_e32 v6, 0xbb9c, v91
	v_sub_f16_e32 v92, v69, v60
	v_sub_f16_e32 v93, v70, v72
	v_fmamk_f16 v20, v42, 0xbb9c, v5
	v_fmac_f16_e32 v5, 0x3b9c, v42
	v_add_f16_e32 v71, v71, v69
	v_fmac_f16_e32 v11, 0x38b4, v42
	v_fmac_f16_e32 v6, 0xb8b4, v42
	v_add_f16_e32 v42, v92, v93
	v_fmac_f16_e32 v20, 0x38b4, v91
	v_fmac_f16_e32 v5, 0xb8b4, v91
	v_add_f16_e32 v71, v71, v70
	v_fmac_f16_e32 v11, 0x34f2, v23
	v_fmac_f16_e32 v6, 0x34f2, v23
	v_fmac_f16_e32 v20, 0x34f2, v42
	;; [unrolled: 1-line block ×3, first 2 shown]
	v_add_f16_e32 v23, v71, v72
	v_add_f16_e32 v42, v10, v61
	;; [unrolled: 1-line block ×3, first 2 shown]
	v_sub_f16_e32 v72, v60, v72
	v_sub_f16_e32 v60, v61, v62
	;; [unrolled: 1-line block ×3, first 2 shown]
	v_add_f16_e32 v92, v42, v62
	v_fma_f16 v42, -0.5, v71, v10
	v_sub_f16_e32 v69, v69, v70
	v_add_f16_e32 v70, v61, v68
	v_add_f16_e32 v71, v60, v91
	;; [unrolled: 1-line block ×3, first 2 shown]
	v_fmamk_f16 v60, v72, 0xbb9c, v42
	v_fmac_f16_e32 v42, 0x3b9c, v72
	v_fmac_f16_e32 v10, -0.5, v70
	v_sub_f16_e32 v70, v62, v61
	v_sub_f16_e32 v63, v63, v68
	v_fmac_f16_e32 v60, 0xb8b4, v69
	v_fmac_f16_e32 v42, 0x38b4, v69
	v_fmamk_f16 v62, v69, 0x3b9c, v10
	v_fmac_f16_e32 v10, 0xbb9c, v69
	v_add_f16_e32 v61, v91, v68
	v_fmac_f16_e32 v60, 0x34f2, v71
	v_fmac_f16_e32 v42, 0x34f2, v71
	v_add_f16_e32 v71, v70, v63
	v_add_f16_e32 v63, v89, v100
	v_sub_f16_e32 v68, v77, v89
	v_sub_f16_e32 v69, v101, v100
	v_fmac_f16_e32 v62, 0xb8b4, v72
	v_fmac_f16_e32 v10, 0x38b4, v72
	v_fma_f16 v63, -0.5, v63, v4
	v_sub_f16_e32 v72, v78, v99
	v_add_f16_e32 v70, v77, v101
	v_add_f16_e32 v91, v68, v69
	v_lshrrev_b32_e32 v68, 16, v4
	v_add_f16_e32 v92, v4, v77
	v_fmamk_f16 v69, v72, 0x3b9c, v63
	v_sub_f16_e32 v93, v79, v84
	v_fmac_f16_e32 v4, -0.5, v70
	v_fmac_f16_e32 v63, 0xbb9c, v72
	v_sub_f16_e32 v94, v89, v77
	v_sub_f16_e32 v95, v100, v101
	v_fmac_f16_e32 v69, 0x38b4, v93
	v_fmamk_f16 v70, v93, 0xbb9c, v4
	v_fmac_f16_e32 v4, 0x3b9c, v93
	v_fmac_f16_e32 v63, 0xb8b4, v93
	v_add_f16_e32 v93, v94, v95
	v_add_f16_e32 v92, v92, v89
	v_fmac_f16_e32 v70, 0x38b4, v72
	v_fmac_f16_e32 v4, 0xb8b4, v72
	;; [unrolled: 1-line block ×4, first 2 shown]
	v_add_f16_e32 v72, v68, v78
	v_add_f16_e32 v91, v79, v84
	v_fmac_f16_e32 v62, 0x34f2, v71
	v_fmac_f16_e32 v10, 0x34f2, v71
	v_add_f16_e32 v71, v92, v100
	v_fmac_f16_e32 v70, 0x34f2, v93
	v_fmac_f16_e32 v4, 0x34f2, v93
	v_sub_f16_e32 v92, v77, v101
	v_sub_f16_e32 v77, v78, v79
	;; [unrolled: 1-line block ×3, first 2 shown]
	v_add_f16_e32 v94, v72, v79
	v_fma_f16 v72, -0.5, v91, v68
	v_sub_f16_e32 v89, v89, v100
	v_add_f16_e32 v91, v78, v99
	v_add_f16_e32 v93, v77, v93
	;; [unrolled: 1-line block ×3, first 2 shown]
	v_fmamk_f16 v77, v92, 0xbb9c, v72
	v_fmac_f16_e32 v72, 0x3b9c, v92
	v_fmac_f16_e32 v68, -0.5, v91
	v_sub_f16_e32 v91, v79, v78
	v_sub_f16_e32 v84, v84, v99
	v_fmac_f16_e32 v77, 0xb8b4, v89
	v_fmac_f16_e32 v72, 0x38b4, v89
	v_fmamk_f16 v79, v89, 0x3b9c, v68
	v_fmac_f16_e32 v68, 0xbb9c, v89
	v_add_f16_e32 v78, v94, v99
	v_fmac_f16_e32 v77, 0x34f2, v93
	v_fmac_f16_e32 v72, 0x34f2, v93
	v_add_f16_e32 v93, v91, v84
	v_add_f16_e32 v84, v86, v87
	v_sub_f16_e32 v89, v88, v86
	v_sub_f16_e32 v91, v90, v87
	v_fmac_f16_e32 v79, 0xb8b4, v92
	v_fmac_f16_e32 v68, 0x38b4, v92
	v_fma_f16 v84, -0.5, v84, v3
	v_sub_f16_e32 v94, v80, v85
	v_add_f16_e32 v92, v88, v90
	v_add_f16_e32 v95, v89, v91
	v_lshrrev_b32_e32 v89, 16, v3
	v_add_f16_e32 v96, v3, v88
	v_fmamk_f16 v91, v94, 0x3b9c, v84
	v_sub_f16_e32 v97, v83, v82
	v_fmac_f16_e32 v3, -0.5, v92
	v_fmac_f16_e32 v84, 0xbb9c, v94
	v_sub_f16_e32 v98, v86, v88
	v_sub_f16_e32 v99, v87, v90
	v_fmac_f16_e32 v91, 0x38b4, v97
	v_fmamk_f16 v92, v97, 0xbb9c, v3
	v_fmac_f16_e32 v3, 0x3b9c, v97
	v_fmac_f16_e32 v84, 0xb8b4, v97
	v_add_f16_e32 v96, v96, v86
	v_add_f16_e32 v97, v98, v99
	v_fmac_f16_e32 v92, 0x38b4, v94
	v_fmac_f16_e32 v3, 0xb8b4, v94
	;; [unrolled: 1-line block ×4, first 2 shown]
	v_add_f16_e32 v93, v96, v87
	v_fmac_f16_e32 v91, 0x34f2, v95
	v_fmac_f16_e32 v84, 0x34f2, v95
	v_add_f16_e32 v94, v89, v80
	v_add_f16_e32 v95, v83, v82
	v_fmac_f16_e32 v92, 0x34f2, v97
	v_fmac_f16_e32 v3, 0x34f2, v97
	v_add_f16_e32 v93, v93, v90
	v_sub_f16_e32 v90, v88, v90
	v_sub_f16_e32 v96, v80, v83
	;; [unrolled: 1-line block ×3, first 2 shown]
	v_add_f16_e32 v94, v94, v83
	v_fma_f16 v88, -0.5, v95, v89
	v_sub_f16_e32 v86, v86, v87
	v_add_f16_e32 v87, v80, v85
	v_add_f16_e32 v95, v96, v97
	;; [unrolled: 1-line block ×3, first 2 shown]
	v_fmamk_f16 v96, v90, 0xbb9c, v88
	v_fmac_f16_e32 v88, 0x3b9c, v90
	v_fmac_f16_e32 v89, -0.5, v87
	v_sub_f16_e32 v80, v83, v80
	v_add_f16_e32 v83, v94, v85
	v_fmac_f16_e32 v96, 0xb8b4, v86
	v_fmac_f16_e32 v88, 0x38b4, v86
	v_sub_f16_e32 v82, v82, v85
	v_fmamk_f16 v85, v86, 0x3b9c, v89
	v_fmac_f16_e32 v89, 0xbb9c, v86
	v_sub_f16_e32 v86, v75, v73
	v_sub_f16_e32 v87, v76, v74
	v_add_f16_e32 v80, v80, v82
	v_add_f16_e32 v82, v73, v74
	v_fmac_f16_e32 v96, 0x34f2, v95
	v_fmac_f16_e32 v88, 0x34f2, v95
	v_add_f16_e32 v86, v86, v87
	v_add_f16_e32 v87, v75, v76
	v_fmac_f16_e32 v85, 0xb8b4, v90
	v_fmac_f16_e32 v89, 0x38b4, v90
	v_fma_f16 v82, -0.5, v82, v2
	v_sub_f16_e32 v90, v64, v67
	v_lshrrev_b32_e32 v94, 16, v2
	v_add_f16_e32 v95, v2, v75
	v_sub_f16_e32 v98, v66, v65
	v_fmac_f16_e32 v2, -0.5, v87
	v_fmamk_f16 v97, v90, 0x3b9c, v82
	v_fmac_f16_e32 v82, 0xbb9c, v90
	v_sub_f16_e32 v87, v73, v75
	v_sub_f16_e32 v99, v74, v76
	v_fmamk_f16 v100, v98, 0xbb9c, v2
	v_fmac_f16_e32 v2, 0x3b9c, v98
	v_fmac_f16_e32 v97, 0x38b4, v98
	;; [unrolled: 1-line block ×3, first 2 shown]
	v_add_f16_e32 v87, v87, v99
	v_add_f16_e32 v95, v95, v73
	v_fmac_f16_e32 v100, 0x38b4, v90
	v_fmac_f16_e32 v2, 0xb8b4, v90
	;; [unrolled: 1-line block ×4, first 2 shown]
	v_add_f16_e32 v80, v95, v74
	v_fmac_f16_e32 v97, 0x34f2, v86
	v_fmac_f16_e32 v82, 0x34f2, v86
	;; [unrolled: 1-line block ×4, first 2 shown]
	v_add_f16_e32 v86, v94, v64
	v_add_f16_e32 v87, v66, v65
	;; [unrolled: 1-line block ×3, first 2 shown]
	v_sub_f16_e32 v75, v75, v76
	v_sub_f16_e32 v76, v64, v66
	;; [unrolled: 1-line block ×3, first 2 shown]
	v_add_f16_e32 v86, v86, v66
	v_fma_f16 v87, -0.5, v87, v94
	v_sub_f16_e32 v73, v73, v74
	v_add_f16_e32 v74, v64, v67
	v_add_f16_e32 v76, v76, v90
	v_add_f16_e32 v86, v86, v65
	v_fmamk_f16 v90, v75, 0xbb9c, v87
	v_fmac_f16_e32 v87, 0x3b9c, v75
	v_fmac_f16_e32 v94, -0.5, v74
	v_sub_f16_e32 v64, v66, v64
	v_add_f16_e32 v66, v86, v67
	v_fmac_f16_e32 v90, 0xb8b4, v73
	v_fmac_f16_e32 v87, 0x38b4, v73
	v_sub_f16_e32 v65, v65, v67
	v_fmamk_f16 v67, v73, 0x3b9c, v94
	v_fmac_f16_e32 v94, 0xbb9c, v73
	v_sub_f16_e32 v73, v17, v19
	v_sub_f16_e32 v74, v59, v21
	v_add_f16_e32 v64, v64, v65
	v_add_f16_e32 v65, v19, v21
	v_fmac_f16_e32 v90, 0x34f2, v76
	v_fmac_f16_e32 v87, 0x34f2, v76
	v_add_f16_e32 v73, v73, v74
	v_add_f16_e32 v74, v17, v59
	v_fmac_f16_e32 v67, 0xb8b4, v75
	v_fmac_f16_e32 v94, 0x38b4, v75
	v_fma_f16 v65, -0.5, v65, v1
	v_sub_f16_e32 v75, v12, v39
	v_lshrrev_b32_e32 v76, 16, v1
	v_add_f16_e32 v86, v1, v17
	v_sub_f16_e32 v98, v15, v14
	v_fmac_f16_e32 v1, -0.5, v74
	v_add_f16_e32 v71, v71, v101
	v_fmamk_f16 v95, v75, 0x3b9c, v65
	v_fmac_f16_e32 v65, 0xbb9c, v75
	v_sub_f16_e32 v74, v19, v17
	v_sub_f16_e32 v99, v21, v59
	v_fmamk_f16 v101, v98, 0xbb9c, v1
	v_fmac_f16_e32 v1, 0x3b9c, v98
	v_fmac_f16_e32 v95, 0x38b4, v98
	v_fmac_f16_e32 v65, 0xb8b4, v98
	v_add_f16_e32 v74, v74, v99
	v_add_f16_e32 v86, v86, v19
	v_fmac_f16_e32 v101, 0x38b4, v75
	v_fmac_f16_e32 v1, 0xb8b4, v75
	;; [unrolled: 1-line block ×4, first 2 shown]
	v_add_f16_e32 v64, v86, v21
	v_fmac_f16_e32 v95, 0x34f2, v73
	v_fmac_f16_e32 v65, 0x34f2, v73
	;; [unrolled: 1-line block ×4, first 2 shown]
	v_add_f16_e32 v73, v76, v12
	v_add_f16_e32 v74, v15, v14
	v_add_f16_e32 v64, v64, v59
	v_sub_f16_e32 v17, v17, v59
	v_sub_f16_e32 v59, v12, v15
	v_sub_f16_e32 v75, v39, v14
	v_add_f16_e32 v73, v73, v15
	v_fma_f16 v74, -0.5, v74, v76
	v_sub_f16_e32 v19, v19, v21
	v_add_f16_e32 v21, v12, v39
	v_add_f16_e32 v59, v59, v75
	;; [unrolled: 1-line block ×3, first 2 shown]
	v_fmamk_f16 v75, v17, 0xbb9c, v74
	v_fmac_f16_e32 v74, 0x3b9c, v17
	v_fmac_f16_e32 v76, -0.5, v21
	v_sub_f16_e32 v12, v15, v12
	v_add_f16_e32 v15, v73, v39
	v_fmac_f16_e32 v75, 0xb8b4, v19
	v_fmac_f16_e32 v74, 0x38b4, v19
	v_sub_f16_e32 v14, v14, v39
	v_fmamk_f16 v21, v19, 0x3b9c, v76
	v_fmac_f16_e32 v76, 0xbb9c, v19
	v_sub_f16_e32 v19, v22, v16
	v_sub_f16_e32 v39, v41, v18
	v_add_f16_e32 v12, v12, v14
	v_add_f16_e32 v14, v16, v18
	v_fmac_f16_e32 v21, 0xb8b4, v17
	v_fmac_f16_e32 v76, 0x38b4, v17
	v_add_f16_e32 v17, v19, v39
	v_add_f16_e32 v19, v22, v41
	v_fmac_f16_e32 v75, 0x34f2, v59
	v_fmac_f16_e32 v74, 0x34f2, v59
	v_fma_f16 v14, -0.5, v14, v0
	v_sub_f16_e32 v39, v9, v8
	v_lshrrev_b32_e32 v59, 16, v0
	v_add_f16_e32 v73, v0, v22
	v_fmac_f16_e32 v0, -0.5, v19
	v_sub_f16_e32 v19, v13, v7
	v_fmamk_f16 v86, v39, 0x3b9c, v14
	v_fmac_f16_e32 v14, 0xbb9c, v39
	v_sub_f16_e32 v98, v16, v22
	v_sub_f16_e32 v99, v18, v41
	v_fmamk_f16 v102, v19, 0xbb9c, v0
	v_fmac_f16_e32 v0, 0x3b9c, v19
	v_add_f16_e32 v73, v73, v16
	v_fmac_f16_e32 v86, 0x38b4, v19
	v_fmac_f16_e32 v14, 0xb8b4, v19
	v_add_f16_e32 v19, v98, v99
	v_fmac_f16_e32 v102, 0x38b4, v39
	v_fmac_f16_e32 v0, 0xb8b4, v39
	;; [unrolled: 1-line block ×4, first 2 shown]
	v_add_f16_e32 v12, v73, v18
	v_fmac_f16_e32 v86, 0x34f2, v17
	v_fmac_f16_e32 v14, 0x34f2, v17
	;; [unrolled: 1-line block ×4, first 2 shown]
	v_add_f16_e32 v17, v13, v7
	v_add_f16_e32 v12, v12, v41
	v_sub_f16_e32 v19, v22, v41
	v_add_f16_e32 v41, v9, v8
	v_sub_f16_e32 v22, v9, v13
	v_sub_f16_e32 v39, v8, v7
	v_add_f16_e32 v73, v59, v9
	v_fma_f16 v17, -0.5, v17, v59
	v_sub_f16_e32 v16, v16, v18
	v_fmac_f16_e32 v59, -0.5, v41
	v_add_f16_e32 v18, v22, v39
	v_add_f16_e32 v39, v73, v13
	v_sub_f16_e32 v9, v13, v9
	v_sub_f16_e32 v13, v7, v8
	v_fmamk_f16 v41, v16, 0x3b9c, v59
	v_fmac_f16_e32 v59, 0xbb9c, v16
	v_add_f16_e32 v7, v39, v7
	v_pack_b32_f16 v5, v5, v10
	v_add_f16_e32 v9, v9, v13
	v_fmac_f16_e32 v41, 0xb8b4, v19
	v_fmac_f16_e32 v59, 0x38b4, v19
	v_add_f16_e32 v7, v7, v8
	v_pack_b32_f16 v8, v23, v61
	v_pack_b32_f16 v6, v6, v42
	v_fmac_f16_e32 v41, 0x34f2, v9
	v_fmac_f16_e32 v59, 0x34f2, v9
	v_pack_b32_f16 v9, v11, v60
	v_pack_b32_f16 v11, v20, v62
	global_wb scope:SCOPE_SE
	s_barrier_signal -1
	s_barrier_wait -1
	global_inv scope:SCOPE_SE
	ds_store_b32 v43, v8
	ds_store_b32 v43, v9 offset:3000
	ds_store_b32 v43, v11 offset:6000
	;; [unrolled: 1-line block ×4, first 2 shown]
	v_pack_b32_f16 v5, v71, v78
	v_pack_b32_f16 v6, v69, v77
	;; [unrolled: 1-line block ×5, first 2 shown]
	ds_store_b32 v58, v5
	ds_store_b32 v58, v6 offset:3000
	ds_store_b32 v58, v8 offset:6000
	ds_store_b32 v58, v4 offset:9000
	ds_store_b32 v58, v9 offset:12000
	v_pack_b32_f16 v4, v93, v83
	v_fmamk_f16 v22, v19, 0xbb9c, v17
	v_pack_b32_f16 v5, v91, v96
	v_pack_b32_f16 v6, v92, v85
	;; [unrolled: 1-line block ×3, first 2 shown]
	v_fmac_f16_e32 v17, 0x3b9c, v19
	v_pack_b32_f16 v8, v84, v88
	ds_store_b32 v57, v4
	ds_store_b32 v57, v5 offset:3000
	ds_store_b32 v57, v6 offset:6000
	;; [unrolled: 1-line block ×4, first 2 shown]
	v_pack_b32_f16 v3, v80, v66
	v_fmac_f16_e32 v22, 0xb8b4, v16
	v_pack_b32_f16 v4, v97, v90
	v_pack_b32_f16 v5, v100, v67
	;; [unrolled: 1-line block ×3, first 2 shown]
	v_fmac_f16_e32 v17, 0x38b4, v16
	v_pack_b32_f16 v6, v82, v87
	ds_store_b32 v56, v3
	ds_store_b32 v56, v4 offset:3000
	ds_store_b32 v56, v5 offset:6000
	;; [unrolled: 1-line block ×4, first 2 shown]
	v_pack_b32_f16 v2, v64, v15
	v_fmac_f16_e32 v22, 0x34f2, v18
	v_pack_b32_f16 v3, v95, v75
	v_pack_b32_f16 v4, v101, v21
	;; [unrolled: 1-line block ×3, first 2 shown]
	v_fmac_f16_e32 v17, 0x34f2, v18
	v_pack_b32_f16 v5, v65, v74
	ds_store_b32 v55, v2
	ds_store_b32 v55, v3 offset:3000
	ds_store_b32 v55, v4 offset:6000
	ds_store_b32 v55, v1 offset:9000
	ds_store_b32 v55, v5 offset:12000
	v_pack_b32_f16 v1, v12, v7
	v_pack_b32_f16 v2, v86, v22
	;; [unrolled: 1-line block ×5, first 2 shown]
	ds_store_b32 v25, v1
	ds_store_b32 v25, v2 offset:3000
	ds_store_b32 v25, v3 offset:6000
	;; [unrolled: 1-line block ×4, first 2 shown]
	global_wb scope:SCOPE_SE
	s_wait_dscnt 0x0
	s_barrier_signal -1
	s_barrier_wait -1
	global_inv scope:SCOPE_SE
	ds_load_b32 v12, v43
	v_sub_nc_u32_e32 v2, 0, v38
                                        ; implicit-def: $vgpr10
                                        ; implicit-def: $vgpr9
                                        ; implicit-def: $vgpr7
                                        ; implicit-def: $vgpr0_vgpr1
	s_wait_dscnt 0x0
	v_lshrrev_b32_e32 v13, 16, v12
	v_cmpx_ne_u32_e32 0, v24
	s_wait_alu 0xfffe
	s_xor_b32 s1, exec_lo, s1
	s_cbranch_execz .LBB0_15
; %bb.14:
	v_mov_b32_e32 v25, v40
	s_delay_alu instid0(VALU_DEP_1) | instskip(NEXT) | instid1(VALU_DEP_1)
	v_lshlrev_b64_e32 v[0:1], 2, v[24:25]
	v_add_co_u32 v0, s0, s8, v0
	s_wait_alu 0xf1ff
	s_delay_alu instid0(VALU_DEP_2)
	v_add_co_ci_u32_e64 v1, s0, s9, v1, s0
	global_load_b32 v0, v[0:1], off offset:14988
	ds_load_b32 v1, v2 offset:15000
	s_wait_dscnt 0x0
	v_sub_f16_e32 v4, v12, v1
	v_lshrrev_b32_e32 v3, 16, v1
	v_add_f16_e32 v1, v1, v12
                                        ; implicit-def: $vgpr12
	s_delay_alu instid0(VALU_DEP_3) | instskip(NEXT) | instid1(VALU_DEP_3)
	v_mul_f16_e32 v4, 0.5, v4
	v_add_f16_e32 v5, v3, v13
	v_sub_f16_e32 v3, v13, v3
                                        ; implicit-def: $vgpr13
	s_delay_alu instid0(VALU_DEP_2) | instskip(NEXT) | instid1(VALU_DEP_2)
	v_mul_f16_e32 v5, 0.5, v5
	v_mul_f16_e32 v3, 0.5, v3
	s_wait_loadcnt 0x0
	v_lshrrev_b32_e32 v6, 16, v0
	s_delay_alu instid0(VALU_DEP_1) | instskip(NEXT) | instid1(VALU_DEP_3)
	v_mul_f16_e32 v7, v6, v4
	v_fma_f16 v8, v5, v6, v3
	v_fma_f16 v3, v5, v6, -v3
	s_delay_alu instid0(VALU_DEP_3) | instskip(SKIP_1) | instid1(VALU_DEP_4)
	v_fma_f16 v11, 0.5, v1, v7
	v_fma_f16 v1, v1, 0.5, -v7
	v_fma_f16 v7, -v0, v4, v8
	s_delay_alu instid0(VALU_DEP_4) | instskip(NEXT) | instid1(VALU_DEP_4)
	v_fma_f16 v10, -v0, v4, v3
	v_fmac_f16_e32 v11, v0, v5
	s_delay_alu instid0(VALU_DEP_4)
	v_fma_f16 v9, -v0, v5, v1
	v_dual_mov_b32 v0, v24 :: v_dual_mov_b32 v1, v25
	ds_store_b16 v43, v11
.LBB0_15:
	s_wait_alu 0xfffe
	s_or_saveexec_b32 s0, s1
	v_sub_nc_u32_e32 v3, 0, v29
	v_sub_nc_u32_e32 v11, 0, v50
	;; [unrolled: 1-line block ×6, first 2 shown]
	s_wait_alu 0xfffe
	s_xor_b32 exec_lo, exec_lo, s0
	s_cbranch_execz .LBB0_17
; %bb.16:
	v_mov_b32_e32 v7, 0
	v_add_f16_e32 v14, v13, v12
	v_sub_f16_e32 v9, v12, v13
	v_mov_b32_e32 v10, 0
	ds_load_u16 v0, v7 offset:7502
	s_wait_dscnt 0x0
	v_xor_b32_e32 v12, 0x8000, v0
	v_mov_b32_e32 v0, 0
	v_mov_b32_e32 v1, 0
	ds_store_b16 v43, v14
	ds_store_b16 v7, v12 offset:7502
.LBB0_17:
	s_or_b32 exec_lo, exec_lo, s0
	v_dual_mov_b32 v29, 0 :: v_dual_add_nc_u32 v8, v48, v8
	v_add_nc_u32_e32 v11, v49, v11
	ds_store_b16 v43, v7 offset:2
	ds_load_b32 v7, v2 offset:14500
	v_lshlrev_b64_e32 v[12:13], 2, v[28:29]
	v_mov_b32_e32 v38, v29
	v_lshlrev_b64_e32 v[0:1], 2, v[0:1]
	v_add_nc_u32_e32 v4, v45, v4
	v_add_nc_u32_e32 v3, v44, v3
	v_add_co_u32 v12, s0, s8, v12
	s_wait_alu 0xf1ff
	v_add_co_ci_u32_e64 v13, s0, s9, v13, s0
	global_load_b32 v14, v[12:13], off offset:14988
	v_lshlrev_b64_e32 v[12:13], 2, v[37:38]
	v_mov_b32_e32 v37, v29
	s_delay_alu instid0(VALU_DEP_2) | instskip(SKIP_1) | instid1(VALU_DEP_3)
	v_add_co_u32 v12, s0, s8, v12
	s_wait_alu 0xf1ff
	v_add_co_ci_u32_e64 v13, s0, s9, v13, s0
	global_load_b32 v15, v[12:13], off offset:14988
	v_lshlrev_b64_e32 v[12:13], 2, v[36:37]
	v_mov_b32_e32 v36, v29
	s_delay_alu instid0(VALU_DEP_2) | instskip(SKIP_1) | instid1(VALU_DEP_3)
	;; [unrolled: 7-line block ×4, first 2 shown]
	v_add_co_u32 v12, s0, s8, v12
	s_wait_alu 0xf1ff
	v_add_co_ci_u32_e64 v13, s0, s9, v13, s0
	global_load_b32 v12, v[12:13], off offset:14988
	v_perm_b32 v13, v10, v9, 0x5040100
	v_lshlrev_b64_e32 v[9:10], 2, v[33:34]
	v_mov_b32_e32 v33, v29
	ds_store_b32 v2, v13 offset:15000
	ds_load_b32 v13, v11
	v_add_co_u32 v9, s0, s8, v9
	s_wait_alu 0xf1ff
	v_add_co_ci_u32_e64 v10, s0, s9, v10, s0
	s_add_nc_u64 s[0:1], s[8:9], 0x3a8c
	s_wait_alu 0xfffe
	v_add_co_u32 v0, s0, s0, v0
	global_load_b32 v9, v[9:10], off offset:14988
	s_wait_alu 0xf1ff
	v_add_co_ci_u32_e64 v1, s0, s1, v1, s0
	s_wait_dscnt 0x0
	v_pk_add_f16 v10, v13, v7 neg_lo:[0,1] neg_hi:[0,1]
	v_pk_add_f16 v7, v13, v7
	s_delay_alu instid0(VALU_DEP_1) | instskip(SKIP_1) | instid1(VALU_DEP_2)
	v_bfi_b32 v13, 0xffff, v10, v7
	v_bfi_b32 v7, 0xffff, v7, v10
	v_pk_mul_f16 v10, v13, 0.5 op_sel_hi:[1,0]
	s_delay_alu instid0(VALU_DEP_2) | instskip(SKIP_1) | instid1(VALU_DEP_1)
	v_pk_mul_f16 v7, v7, 0.5 op_sel_hi:[1,0]
	s_wait_loadcnt 0x5
	v_pk_fma_f16 v13, v14, v10, v7 op_sel:[1,0,0]
	v_pk_mul_f16 v18, v14, v10 op_sel_hi:[0,1]
	v_pk_fma_f16 v19, v14, v10, v7 op_sel:[1,0,0] neg_lo:[1,0,0] neg_hi:[1,0,0]
	v_pk_fma_f16 v7, v14, v10, v7 op_sel:[1,0,0] neg_lo:[0,0,1] neg_hi:[0,0,1]
	s_delay_alu instid0(VALU_DEP_3) | instskip(SKIP_1) | instid1(VALU_DEP_4)
	v_pk_add_f16 v10, v13, v18 op_sel:[0,1] op_sel_hi:[1,0]
	v_pk_add_f16 v13, v13, v18 op_sel:[0,1] op_sel_hi:[1,0] neg_lo:[0,1] neg_hi:[0,1]
	v_pk_add_f16 v14, v19, v18 op_sel:[0,1] op_sel_hi:[1,0] neg_lo:[0,1] neg_hi:[0,1]
	s_delay_alu instid0(VALU_DEP_4) | instskip(NEXT) | instid1(VALU_DEP_3)
	v_pk_add_f16 v7, v7, v18 op_sel:[0,1] op_sel_hi:[1,0] neg_lo:[0,1] neg_hi:[0,1]
	v_bfi_b32 v10, 0xffff, v10, v13
	s_delay_alu instid0(VALU_DEP_2)
	v_bfi_b32 v7, 0xffff, v14, v7
	ds_store_b32 v11, v10
	ds_store_b32 v2, v7 offset:14500
	ds_load_b32 v7, v8
	ds_load_b32 v10, v2 offset:14000
	global_load_b32 v11, v[0:1], off offset:3500
	s_wait_dscnt 0x0
	v_pk_add_f16 v13, v7, v10 neg_lo:[0,1] neg_hi:[0,1]
	v_pk_add_f16 v7, v7, v10
	s_delay_alu instid0(VALU_DEP_1) | instskip(SKIP_1) | instid1(VALU_DEP_2)
	v_bfi_b32 v10, 0xffff, v13, v7
	v_bfi_b32 v7, 0xffff, v7, v13
	v_pk_mul_f16 v10, v10, 0.5 op_sel_hi:[1,0]
	s_delay_alu instid0(VALU_DEP_2) | instskip(SKIP_1) | instid1(VALU_DEP_2)
	v_pk_mul_f16 v7, v7, 0.5 op_sel_hi:[1,0]
	s_wait_loadcnt 0x5
	v_pk_mul_f16 v14, v15, v10 op_sel_hi:[0,1]
	s_delay_alu instid0(VALU_DEP_2) | instskip(SKIP_2) | instid1(VALU_DEP_3)
	v_pk_fma_f16 v13, v15, v10, v7 op_sel:[1,0,0]
	v_pk_fma_f16 v18, v15, v10, v7 op_sel:[1,0,0] neg_lo:[1,0,0] neg_hi:[1,0,0]
	v_pk_fma_f16 v7, v15, v10, v7 op_sel:[1,0,0] neg_lo:[0,0,1] neg_hi:[0,0,1]
	v_pk_add_f16 v10, v13, v14 op_sel:[0,1] op_sel_hi:[1,0]
	v_pk_add_f16 v13, v13, v14 op_sel:[0,1] op_sel_hi:[1,0] neg_lo:[0,1] neg_hi:[0,1]
	s_delay_alu instid0(VALU_DEP_4) | instskip(NEXT) | instid1(VALU_DEP_4)
	v_pk_add_f16 v15, v18, v14 op_sel:[0,1] op_sel_hi:[1,0] neg_lo:[0,1] neg_hi:[0,1]
	v_pk_add_f16 v7, v7, v14 op_sel:[0,1] op_sel_hi:[1,0] neg_lo:[0,1] neg_hi:[0,1]
	s_delay_alu instid0(VALU_DEP_3) | instskip(SKIP_1) | instid1(VALU_DEP_3)
	v_bfi_b32 v10, 0xffff, v10, v13
	v_add_nc_u32_e32 v13, v47, v6
	v_bfi_b32 v7, 0xffff, v15, v7
	ds_store_b32 v8, v10
	ds_store_b32 v2, v7 offset:14000
	ds_load_b32 v6, v13
	ds_load_b32 v7, v2 offset:13500
	global_load_b32 v8, v[0:1], off offset:4000
	s_wait_dscnt 0x0
	v_pk_add_f16 v10, v6, v7 neg_lo:[0,1] neg_hi:[0,1]
	v_pk_add_f16 v6, v6, v7
	s_delay_alu instid0(VALU_DEP_1) | instskip(SKIP_1) | instid1(VALU_DEP_2)
	v_bfi_b32 v7, 0xffff, v10, v6
	v_bfi_b32 v6, 0xffff, v6, v10
	v_pk_mul_f16 v7, v7, 0.5 op_sel_hi:[1,0]
	s_delay_alu instid0(VALU_DEP_2) | instskip(SKIP_1) | instid1(VALU_DEP_2)
	v_pk_mul_f16 v6, v6, 0.5 op_sel_hi:[1,0]
	s_wait_loadcnt 0x5
	v_pk_mul_f16 v14, v16, v7 op_sel_hi:[0,1]
	s_delay_alu instid0(VALU_DEP_2) | instskip(SKIP_2) | instid1(VALU_DEP_3)
	v_pk_fma_f16 v10, v16, v7, v6 op_sel:[1,0,0]
	v_pk_fma_f16 v15, v16, v7, v6 op_sel:[1,0,0] neg_lo:[1,0,0] neg_hi:[1,0,0]
	v_pk_fma_f16 v6, v16, v7, v6 op_sel:[1,0,0] neg_lo:[0,0,1] neg_hi:[0,0,1]
	v_pk_add_f16 v7, v10, v14 op_sel:[0,1] op_sel_hi:[1,0]
	v_pk_add_f16 v10, v10, v14 op_sel:[0,1] op_sel_hi:[1,0] neg_lo:[0,1] neg_hi:[0,1]
	s_delay_alu instid0(VALU_DEP_4) | instskip(NEXT) | instid1(VALU_DEP_4)
	v_pk_add_f16 v15, v15, v14 op_sel:[0,1] op_sel_hi:[1,0] neg_lo:[0,1] neg_hi:[0,1]
	v_pk_add_f16 v6, v6, v14 op_sel:[0,1] op_sel_hi:[1,0] neg_lo:[0,1] neg_hi:[0,1]
	v_add_nc_u32_e32 v14, v46, v5
	s_delay_alu instid0(VALU_DEP_4) | instskip(NEXT) | instid1(VALU_DEP_3)
	v_bfi_b32 v7, 0xffff, v7, v10
	v_bfi_b32 v10, 0xffff, v15, v6
	v_lshlrev_b64_e32 v[5:6], 2, v[32:33]
	ds_store_b32 v13, v7
	ds_store_b32 v2, v10 offset:13500
	ds_load_b32 v7, v14
	ds_load_b32 v10, v2 offset:13000
	v_add_co_u32 v5, s0, s8, v5
	s_wait_alu 0xf1ff
	v_add_co_ci_u32_e64 v6, s0, s9, v6, s0
	global_load_b32 v5, v[5:6], off offset:14988
	s_wait_dscnt 0x0
	v_pk_add_f16 v6, v7, v10 neg_lo:[0,1] neg_hi:[0,1]
	v_pk_add_f16 v7, v7, v10
	s_delay_alu instid0(VALU_DEP_1) | instskip(SKIP_1) | instid1(VALU_DEP_2)
	v_bfi_b32 v10, 0xffff, v6, v7
	v_bfi_b32 v6, 0xffff, v7, v6
	v_pk_mul_f16 v7, v10, 0.5 op_sel_hi:[1,0]
	s_delay_alu instid0(VALU_DEP_2) | instskip(SKIP_1) | instid1(VALU_DEP_2)
	v_pk_mul_f16 v6, v6, 0.5 op_sel_hi:[1,0]
	s_wait_loadcnt 0x5
	v_pk_mul_f16 v13, v17, v7 op_sel_hi:[0,1]
	s_delay_alu instid0(VALU_DEP_2) | instskip(SKIP_2) | instid1(VALU_DEP_3)
	v_pk_fma_f16 v10, v17, v7, v6 op_sel:[1,0,0]
	v_pk_fma_f16 v15, v17, v7, v6 op_sel:[1,0,0] neg_lo:[1,0,0] neg_hi:[1,0,0]
	v_pk_fma_f16 v6, v17, v7, v6 op_sel:[1,0,0] neg_lo:[0,0,1] neg_hi:[0,0,1]
	v_pk_add_f16 v7, v10, v13 op_sel:[0,1] op_sel_hi:[1,0]
	v_pk_add_f16 v10, v10, v13 op_sel:[0,1] op_sel_hi:[1,0] neg_lo:[0,1] neg_hi:[0,1]
	s_delay_alu instid0(VALU_DEP_4) | instskip(NEXT) | instid1(VALU_DEP_4)
	v_pk_add_f16 v15, v15, v13 op_sel:[0,1] op_sel_hi:[1,0] neg_lo:[0,1] neg_hi:[0,1]
	v_pk_add_f16 v6, v6, v13 op_sel:[0,1] op_sel_hi:[1,0] neg_lo:[0,1] neg_hi:[0,1]
	s_delay_alu instid0(VALU_DEP_3) | instskip(NEXT) | instid1(VALU_DEP_2)
	v_bfi_b32 v7, 0xffff, v7, v10
	v_bfi_b32 v6, 0xffff, v15, v6
	ds_store_b32 v14, v7
	ds_store_b32 v2, v6 offset:13000
	ds_load_b32 v6, v4
	ds_load_b32 v7, v2 offset:12500
	global_load_b32 v10, v[0:1], off offset:5000
	s_wait_dscnt 0x0
	v_pk_add_f16 v13, v6, v7 neg_lo:[0,1] neg_hi:[0,1]
	v_pk_add_f16 v6, v6, v7
	s_delay_alu instid0(VALU_DEP_1) | instskip(SKIP_1) | instid1(VALU_DEP_2)
	v_bfi_b32 v7, 0xffff, v13, v6
	v_bfi_b32 v6, 0xffff, v6, v13
	v_pk_mul_f16 v7, v7, 0.5 op_sel_hi:[1,0]
	s_delay_alu instid0(VALU_DEP_2) | instskip(SKIP_1) | instid1(VALU_DEP_2)
	v_pk_mul_f16 v6, v6, 0.5 op_sel_hi:[1,0]
	s_wait_loadcnt 0x5
	v_pk_mul_f16 v14, v12, v7 op_sel_hi:[0,1]
	s_delay_alu instid0(VALU_DEP_2) | instskip(SKIP_2) | instid1(VALU_DEP_3)
	v_pk_fma_f16 v13, v12, v7, v6 op_sel:[1,0,0]
	v_pk_fma_f16 v15, v12, v7, v6 op_sel:[1,0,0] neg_lo:[1,0,0] neg_hi:[1,0,0]
	v_pk_fma_f16 v6, v12, v7, v6 op_sel:[1,0,0] neg_lo:[0,0,1] neg_hi:[0,0,1]
	v_pk_add_f16 v7, v13, v14 op_sel:[0,1] op_sel_hi:[1,0]
	v_pk_add_f16 v12, v13, v14 op_sel:[0,1] op_sel_hi:[1,0] neg_lo:[0,1] neg_hi:[0,1]
	s_delay_alu instid0(VALU_DEP_4) | instskip(NEXT) | instid1(VALU_DEP_4)
	v_pk_add_f16 v13, v15, v14 op_sel:[0,1] op_sel_hi:[1,0] neg_lo:[0,1] neg_hi:[0,1]
	v_pk_add_f16 v6, v6, v14 op_sel:[0,1] op_sel_hi:[1,0] neg_lo:[0,1] neg_hi:[0,1]
	s_delay_alu instid0(VALU_DEP_3) | instskip(NEXT) | instid1(VALU_DEP_2)
	v_bfi_b32 v7, 0xffff, v7, v12
	v_bfi_b32 v6, 0xffff, v13, v6
	ds_store_b32 v4, v7
	ds_store_b32 v2, v6 offset:12500
	ds_load_b32 v4, v3
	ds_load_b32 v6, v2 offset:12000
	global_load_b32 v7, v[0:1], off offset:5500
	s_wait_dscnt 0x0
	v_pk_add_f16 v12, v4, v6 neg_lo:[0,1] neg_hi:[0,1]
	v_pk_add_f16 v4, v4, v6
	s_delay_alu instid0(VALU_DEP_1) | instskip(SKIP_1) | instid1(VALU_DEP_2)
	v_bfi_b32 v6, 0xffff, v12, v4
	v_bfi_b32 v4, 0xffff, v4, v12
	v_pk_mul_f16 v6, v6, 0.5 op_sel_hi:[1,0]
	s_delay_alu instid0(VALU_DEP_2) | instskip(SKIP_1) | instid1(VALU_DEP_2)
	v_pk_mul_f16 v4, v4, 0.5 op_sel_hi:[1,0]
	s_wait_loadcnt 0x5
	v_pk_mul_f16 v13, v9, v6 op_sel_hi:[0,1]
	s_delay_alu instid0(VALU_DEP_2) | instskip(SKIP_2) | instid1(VALU_DEP_3)
	v_pk_fma_f16 v12, v9, v6, v4 op_sel:[1,0,0]
	v_pk_fma_f16 v14, v9, v6, v4 op_sel:[1,0,0] neg_lo:[1,0,0] neg_hi:[1,0,0]
	v_pk_fma_f16 v4, v9, v6, v4 op_sel:[1,0,0] neg_lo:[0,0,1] neg_hi:[0,0,1]
	v_pk_add_f16 v6, v12, v13 op_sel:[0,1] op_sel_hi:[1,0]
	v_pk_add_f16 v9, v12, v13 op_sel:[0,1] op_sel_hi:[1,0] neg_lo:[0,1] neg_hi:[0,1]
	s_delay_alu instid0(VALU_DEP_4) | instskip(NEXT) | instid1(VALU_DEP_4)
	v_pk_add_f16 v12, v14, v13 op_sel:[0,1] op_sel_hi:[1,0] neg_lo:[0,1] neg_hi:[0,1]
	v_pk_add_f16 v4, v4, v13 op_sel:[0,1] op_sel_hi:[1,0] neg_lo:[0,1] neg_hi:[0,1]
	s_delay_alu instid0(VALU_DEP_3) | instskip(NEXT) | instid1(VALU_DEP_2)
	v_bfi_b32 v6, 0xffff, v6, v9
	v_bfi_b32 v4, 0xffff, v12, v4
	ds_store_b32 v3, v6
	ds_store_b32 v2, v4 offset:12000
	ds_load_b32 v3, v43 offset:3500
	ds_load_b32 v4, v2 offset:11500
	global_load_b32 v6, v[0:1], off offset:6000
	s_wait_dscnt 0x0
	v_pk_add_f16 v9, v3, v4 neg_lo:[0,1] neg_hi:[0,1]
	v_pk_add_f16 v3, v3, v4
	s_delay_alu instid0(VALU_DEP_1)
	v_bfi_b32 v4, 0xffff, v9, v3
	v_bfi_b32 v3, 0xffff, v3, v9
	s_clause 0x1
	global_load_b32 v9, v[0:1], off offset:6500
	global_load_b32 v0, v[0:1], off offset:7000
	v_pk_mul_f16 v4, v4, 0.5 op_sel_hi:[1,0]
	v_pk_mul_f16 v3, v3, 0.5 op_sel_hi:[1,0]
	s_wait_loadcnt 0x7
	s_delay_alu instid0(VALU_DEP_1) | instskip(SKIP_3) | instid1(VALU_DEP_3)
	v_pk_fma_f16 v1, v11, v4, v3 op_sel:[1,0,0]
	v_pk_mul_f16 v12, v11, v4 op_sel_hi:[0,1]
	v_pk_fma_f16 v13, v11, v4, v3 op_sel:[1,0,0] neg_lo:[1,0,0] neg_hi:[1,0,0]
	v_pk_fma_f16 v3, v11, v4, v3 op_sel:[1,0,0] neg_lo:[0,0,1] neg_hi:[0,0,1]
	v_pk_add_f16 v4, v1, v12 op_sel:[0,1] op_sel_hi:[1,0]
	v_pk_add_f16 v1, v1, v12 op_sel:[0,1] op_sel_hi:[1,0] neg_lo:[0,1] neg_hi:[0,1]
	s_delay_alu instid0(VALU_DEP_4) | instskip(NEXT) | instid1(VALU_DEP_4)
	v_pk_add_f16 v11, v13, v12 op_sel:[0,1] op_sel_hi:[1,0] neg_lo:[0,1] neg_hi:[0,1]
	v_pk_add_f16 v3, v3, v12 op_sel:[0,1] op_sel_hi:[1,0] neg_lo:[0,1] neg_hi:[0,1]
	s_delay_alu instid0(VALU_DEP_3) | instskip(NEXT) | instid1(VALU_DEP_2)
	v_bfi_b32 v1, 0xffff, v4, v1
	v_bfi_b32 v3, 0xffff, v11, v3
	ds_store_b32 v43, v1 offset:3500
	ds_store_b32 v2, v3 offset:11500
	ds_load_b32 v1, v43 offset:4000
	ds_load_b32 v3, v2 offset:11000
	s_wait_dscnt 0x0
	v_pk_add_f16 v4, v1, v3 neg_lo:[0,1] neg_hi:[0,1]
	v_pk_add_f16 v1, v1, v3
	s_delay_alu instid0(VALU_DEP_1) | instskip(SKIP_1) | instid1(VALU_DEP_2)
	v_bfi_b32 v3, 0xffff, v4, v1
	v_bfi_b32 v1, 0xffff, v1, v4
	v_pk_mul_f16 v3, v3, 0.5 op_sel_hi:[1,0]
	s_delay_alu instid0(VALU_DEP_2) | instskip(SKIP_1) | instid1(VALU_DEP_2)
	v_pk_mul_f16 v1, v1, 0.5 op_sel_hi:[1,0]
	s_wait_loadcnt 0x6
	v_pk_mul_f16 v11, v8, v3 op_sel_hi:[0,1]
	s_delay_alu instid0(VALU_DEP_2) | instskip(SKIP_2) | instid1(VALU_DEP_3)
	v_pk_fma_f16 v4, v8, v3, v1 op_sel:[1,0,0]
	v_pk_fma_f16 v12, v8, v3, v1 op_sel:[1,0,0] neg_lo:[1,0,0] neg_hi:[1,0,0]
	v_pk_fma_f16 v1, v8, v3, v1 op_sel:[1,0,0] neg_lo:[0,0,1] neg_hi:[0,0,1]
	v_pk_add_f16 v3, v4, v11 op_sel:[0,1] op_sel_hi:[1,0]
	v_pk_add_f16 v4, v4, v11 op_sel:[0,1] op_sel_hi:[1,0] neg_lo:[0,1] neg_hi:[0,1]
	s_delay_alu instid0(VALU_DEP_4) | instskip(NEXT) | instid1(VALU_DEP_4)
	v_pk_add_f16 v8, v12, v11 op_sel:[0,1] op_sel_hi:[1,0] neg_lo:[0,1] neg_hi:[0,1]
	v_pk_add_f16 v1, v1, v11 op_sel:[0,1] op_sel_hi:[1,0] neg_lo:[0,1] neg_hi:[0,1]
	s_delay_alu instid0(VALU_DEP_3) | instskip(NEXT) | instid1(VALU_DEP_2)
	v_bfi_b32 v3, 0xffff, v3, v4
	v_bfi_b32 v1, 0xffff, v8, v1
	ds_store_b32 v43, v3 offset:4000
	ds_store_b32 v2, v1 offset:11000
	ds_load_b32 v1, v81
	ds_load_b32 v3, v2 offset:10500
	s_wait_dscnt 0x0
	v_pk_add_f16 v4, v1, v3 neg_lo:[0,1] neg_hi:[0,1]
	v_pk_add_f16 v1, v1, v3
	s_delay_alu instid0(VALU_DEP_1) | instskip(SKIP_1) | instid1(VALU_DEP_2)
	v_bfi_b32 v3, 0xffff, v4, v1
	v_bfi_b32 v1, 0xffff, v1, v4
	v_pk_mul_f16 v3, v3, 0.5 op_sel_hi:[1,0]
	s_delay_alu instid0(VALU_DEP_2) | instskip(SKIP_1) | instid1(VALU_DEP_1)
	v_pk_mul_f16 v1, v1, 0.5 op_sel_hi:[1,0]
	s_wait_loadcnt 0x5
	v_pk_fma_f16 v4, v5, v3, v1 op_sel:[1,0,0]
	v_pk_mul_f16 v8, v5, v3 op_sel_hi:[0,1]
	v_pk_fma_f16 v11, v5, v3, v1 op_sel:[1,0,0] neg_lo:[1,0,0] neg_hi:[1,0,0]
	v_pk_fma_f16 v1, v5, v3, v1 op_sel:[1,0,0] neg_lo:[0,0,1] neg_hi:[0,0,1]
	s_delay_alu instid0(VALU_DEP_3) | instskip(SKIP_1) | instid1(VALU_DEP_4)
	v_pk_add_f16 v3, v4, v8 op_sel:[0,1] op_sel_hi:[1,0]
	v_pk_add_f16 v4, v4, v8 op_sel:[0,1] op_sel_hi:[1,0] neg_lo:[0,1] neg_hi:[0,1]
	v_pk_add_f16 v5, v11, v8 op_sel:[0,1] op_sel_hi:[1,0] neg_lo:[0,1] neg_hi:[0,1]
	s_delay_alu instid0(VALU_DEP_4) | instskip(NEXT) | instid1(VALU_DEP_3)
	v_pk_add_f16 v1, v1, v8 op_sel:[0,1] op_sel_hi:[1,0] neg_lo:[0,1] neg_hi:[0,1]
	v_bfi_b32 v3, 0xffff, v3, v4
	s_delay_alu instid0(VALU_DEP_2)
	v_bfi_b32 v1, 0xffff, v5, v1
	ds_store_b32 v81, v3
	ds_store_b32 v2, v1 offset:10500
	ds_load_b32 v1, v43 offset:5000
	ds_load_b32 v3, v2 offset:10000
	s_wait_dscnt 0x0
	v_pk_add_f16 v4, v1, v3 neg_lo:[0,1] neg_hi:[0,1]
	v_pk_add_f16 v1, v1, v3
	s_delay_alu instid0(VALU_DEP_1) | instskip(SKIP_1) | instid1(VALU_DEP_2)
	v_bfi_b32 v3, 0xffff, v4, v1
	v_bfi_b32 v1, 0xffff, v1, v4
	v_pk_mul_f16 v3, v3, 0.5 op_sel_hi:[1,0]
	s_delay_alu instid0(VALU_DEP_2) | instskip(SKIP_1) | instid1(VALU_DEP_2)
	v_pk_mul_f16 v1, v1, 0.5 op_sel_hi:[1,0]
	s_wait_loadcnt 0x4
	v_pk_mul_f16 v5, v10, v3 op_sel_hi:[0,1]
	s_delay_alu instid0(VALU_DEP_2) | instskip(SKIP_2) | instid1(VALU_DEP_3)
	v_pk_fma_f16 v4, v10, v3, v1 op_sel:[1,0,0]
	v_pk_fma_f16 v8, v10, v3, v1 op_sel:[1,0,0] neg_lo:[1,0,0] neg_hi:[1,0,0]
	v_pk_fma_f16 v1, v10, v3, v1 op_sel:[1,0,0] neg_lo:[0,0,1] neg_hi:[0,0,1]
	v_pk_add_f16 v3, v4, v5 op_sel:[0,1] op_sel_hi:[1,0]
	v_pk_add_f16 v4, v4, v5 op_sel:[0,1] op_sel_hi:[1,0] neg_lo:[0,1] neg_hi:[0,1]
	s_delay_alu instid0(VALU_DEP_4) | instskip(NEXT) | instid1(VALU_DEP_4)
	v_pk_add_f16 v8, v8, v5 op_sel:[0,1] op_sel_hi:[1,0] neg_lo:[0,1] neg_hi:[0,1]
	v_pk_add_f16 v1, v1, v5 op_sel:[0,1] op_sel_hi:[1,0] neg_lo:[0,1] neg_hi:[0,1]
	s_delay_alu instid0(VALU_DEP_3) | instskip(NEXT) | instid1(VALU_DEP_2)
	v_bfi_b32 v3, 0xffff, v3, v4
	v_bfi_b32 v1, 0xffff, v8, v1
	ds_store_b32 v43, v3 offset:5000
	ds_store_b32 v2, v1 offset:10000
	ds_load_b32 v1, v43 offset:5500
	ds_load_b32 v3, v2 offset:9500
	s_wait_dscnt 0x0
	v_pk_add_f16 v4, v1, v3 neg_lo:[0,1] neg_hi:[0,1]
	v_pk_add_f16 v1, v1, v3
	s_delay_alu instid0(VALU_DEP_1) | instskip(SKIP_1) | instid1(VALU_DEP_2)
	v_bfi_b32 v3, 0xffff, v4, v1
	v_bfi_b32 v1, 0xffff, v1, v4
	v_pk_mul_f16 v3, v3, 0.5 op_sel_hi:[1,0]
	s_delay_alu instid0(VALU_DEP_2) | instskip(SKIP_1) | instid1(VALU_DEP_2)
	v_pk_mul_f16 v1, v1, 0.5 op_sel_hi:[1,0]
	s_wait_loadcnt 0x3
	v_pk_mul_f16 v5, v7, v3 op_sel_hi:[0,1]
	s_delay_alu instid0(VALU_DEP_2) | instskip(SKIP_2) | instid1(VALU_DEP_3)
	v_pk_fma_f16 v4, v7, v3, v1 op_sel:[1,0,0]
	v_pk_fma_f16 v8, v7, v3, v1 op_sel:[1,0,0] neg_lo:[1,0,0] neg_hi:[1,0,0]
	v_pk_fma_f16 v1, v7, v3, v1 op_sel:[1,0,0] neg_lo:[0,0,1] neg_hi:[0,0,1]
	v_pk_add_f16 v3, v4, v5 op_sel:[0,1] op_sel_hi:[1,0]
	v_pk_add_f16 v4, v4, v5 op_sel:[0,1] op_sel_hi:[1,0] neg_lo:[0,1] neg_hi:[0,1]
	s_delay_alu instid0(VALU_DEP_4) | instskip(NEXT) | instid1(VALU_DEP_4)
	v_pk_add_f16 v7, v8, v5 op_sel:[0,1] op_sel_hi:[1,0] neg_lo:[0,1] neg_hi:[0,1]
	v_pk_add_f16 v1, v1, v5 op_sel:[0,1] op_sel_hi:[1,0] neg_lo:[0,1] neg_hi:[0,1]
	s_delay_alu instid0(VALU_DEP_3) | instskip(NEXT) | instid1(VALU_DEP_2)
	v_bfi_b32 v3, 0xffff, v3, v4
	v_bfi_b32 v1, 0xffff, v7, v1
	ds_store_b32 v43, v3 offset:5500
	;; [unrolled: 27-line block ×5, first 2 shown]
	ds_store_b32 v2, v0 offset:8000
	global_wb scope:SCOPE_SE
	s_wait_dscnt 0x0
	s_barrier_signal -1
	s_barrier_wait -1
	global_inv scope:SCOPE_SE
	s_and_saveexec_b32 s0, vcc_lo
	s_cbranch_execz .LBB0_20
; %bb.18:
	v_mul_lo_u32 v2, s3, v30
	v_mul_lo_u32 v3, s2, v31
	v_mad_co_u64_u32 v[0:1], null, s2, v30, 0
	v_dual_mov_b32 v25, v29 :: v_dual_add_nc_u32 v28, 0x7d, v24
	v_lshl_add_u32 v32, v24, 2, 0
	s_delay_alu instid0(VALU_DEP_2) | instskip(NEXT) | instid1(VALU_DEP_4)
	v_lshlrev_b64_e32 v[6:7], 2, v[24:25]
	v_add3_u32 v1, v1, v3, v2
	v_lshlrev_b64_e32 v[2:3], 2, v[26:27]
	v_lshlrev_b64_e32 v[8:9], 2, v[28:29]
	v_add_nc_u32_e32 v28, 0xfa, v24
	v_add_nc_u32_e32 v12, 0x200, v32
	v_lshlrev_b64_e32 v[0:1], 2, v[0:1]
	v_add_nc_u32_e32 v16, 0x600, v32
	ds_load_2addr_b32 v[4:5], v32 offset1:125
	v_lshlrev_b64_e32 v[10:11], 2, v[28:29]
	v_add_nc_u32_e32 v28, 0x177, v24
	v_add_nc_u32_e32 v22, 0xa00, v32
	v_add_co_u32 v0, vcc_lo, s6, v0
	s_wait_alu 0xfffd
	v_add_co_ci_u32_e32 v1, vcc_lo, s7, v1, vcc_lo
	ds_load_2addr_b32 v[16:17], v16 offset0:116 offset1:241
	v_add_co_u32 v0, vcc_lo, v0, v2
	s_wait_alu 0xfffd
	v_add_co_ci_u32_e32 v1, vcc_lo, v1, v3, vcc_lo
	ds_load_2addr_b32 v[22:23], v22 offset0:110 offset1:235
	v_add_co_u32 v2, vcc_lo, v0, v6
	s_wait_alu 0xfffd
	v_add_co_ci_u32_e32 v3, vcc_lo, v1, v7, vcc_lo
	v_add_co_u32 v6, vcc_lo, v0, v8
	s_wait_alu 0xfffd
	v_add_co_ci_u32_e32 v7, vcc_lo, v1, v9, vcc_lo
	ds_load_2addr_b32 v[8:9], v12 offset0:122 offset1:247
	v_lshlrev_b64_e32 v[12:13], 2, v[28:29]
	v_add_nc_u32_e32 v28, 0x1f4, v24
	v_add_co_u32 v10, vcc_lo, v0, v10
	s_wait_alu 0xfffd
	v_add_co_ci_u32_e32 v11, vcc_lo, v1, v11, vcc_lo
	s_delay_alu instid0(VALU_DEP_3) | instskip(SKIP_4) | instid1(VALU_DEP_3)
	v_lshlrev_b64_e32 v[14:15], 2, v[28:29]
	v_add_nc_u32_e32 v28, 0x271, v24
	v_add_co_u32 v12, vcc_lo, v0, v12
	s_wait_alu 0xfffd
	v_add_co_ci_u32_e32 v13, vcc_lo, v1, v13, vcc_lo
	v_lshlrev_b64_e32 v[18:19], 2, v[28:29]
	v_add_nc_u32_e32 v28, 0x2ee, v24
	v_add_co_u32 v14, vcc_lo, v0, v14
	s_wait_alu 0xfffd
	v_add_co_ci_u32_e32 v15, vcc_lo, v1, v15, vcc_lo
	s_delay_alu instid0(VALU_DEP_3) | instskip(SKIP_4) | instid1(VALU_DEP_3)
	v_lshlrev_b64_e32 v[20:21], 2, v[28:29]
	v_add_nc_u32_e32 v28, 0x36b, v24
	v_add_co_u32 v18, vcc_lo, v0, v18
	s_wait_alu 0xfffd
	v_add_co_ci_u32_e32 v19, vcc_lo, v1, v19, vcc_lo
	v_lshlrev_b64_e32 v[25:26], 2, v[28:29]
	v_add_nc_u32_e32 v28, 0x3e8, v24
	v_add_co_u32 v20, vcc_lo, v0, v20
	s_wait_alu 0xfffd
	v_add_co_ci_u32_e32 v21, vcc_lo, v1, v21, vcc_lo
	s_delay_alu instid0(VALU_DEP_3)
	v_lshlrev_b64_e32 v[30:31], 2, v[28:29]
	v_add_nc_u32_e32 v28, 0x465, v24
	v_add_co_u32 v25, vcc_lo, v0, v25
	s_wait_alu 0xfffd
	v_add_co_ci_u32_e32 v26, vcc_lo, v1, v26, vcc_lo
	s_wait_dscnt 0x3
	s_clause 0x1
	global_store_b32 v[2:3], v4, off
	global_store_b32 v[6:7], v5, off
	s_wait_dscnt 0x0
	s_clause 0x5
	global_store_b32 v[10:11], v8, off
	global_store_b32 v[12:13], v9, off
	;; [unrolled: 1-line block ×6, first 2 shown]
	v_lshlrev_b64_e32 v[4:5], 2, v[28:29]
	v_add_nc_u32_e32 v28, 0x4e2, v24
	v_add_nc_u32_e32 v27, 0xe00, v32
	v_add_co_u32 v6, vcc_lo, v0, v30
	v_add_nc_u32_e32 v10, 0x1200, v32
	s_delay_alu instid0(VALU_DEP_4)
	v_lshlrev_b64_e32 v[8:9], 2, v[28:29]
	v_add_nc_u32_e32 v28, 0x55f, v24
	s_wait_alu 0xfffd
	v_add_co_ci_u32_e32 v7, vcc_lo, v1, v31, vcc_lo
	v_add_nc_u32_e32 v16, 0x1600, v32
	ds_load_2addr_b32 v[2:3], v27 offset0:104 offset1:229
	v_lshlrev_b64_e32 v[12:13], 2, v[28:29]
	v_add_nc_u32_e32 v28, 0x5dc, v24
	v_add_co_u32 v4, vcc_lo, v0, v4
	v_add_nc_u32_e32 v22, 0x1a00, v32
	s_wait_alu 0xfffd
	v_add_co_ci_u32_e32 v5, vcc_lo, v1, v5, vcc_lo
	v_lshlrev_b64_e32 v[14:15], 2, v[28:29]
	v_add_nc_u32_e32 v28, 0x659, v24
	ds_load_2addr_b32 v[10:11], v10 offset0:98 offset1:223
	v_add_co_u32 v8, vcc_lo, v0, v8
	ds_load_2addr_b32 v[16:17], v16 offset0:92 offset1:217
	v_lshlrev_b64_e32 v[18:19], 2, v[28:29]
	v_add_nc_u32_e32 v28, 0x6d6, v24
	s_wait_alu 0xfffd
	v_add_co_ci_u32_e32 v9, vcc_lo, v1, v9, vcc_lo
	v_add_co_u32 v12, vcc_lo, v0, v12
	s_delay_alu instid0(VALU_DEP_3)
	v_lshlrev_b64_e32 v[20:21], 2, v[28:29]
	v_add_nc_u32_e32 v28, 0x753, v24
	ds_load_2addr_b32 v[22:23], v22 offset0:86 offset1:211
	s_wait_alu 0xfffd
	v_add_co_ci_u32_e32 v13, vcc_lo, v1, v13, vcc_lo
	v_add_co_u32 v14, vcc_lo, v0, v14
	v_lshlrev_b64_e32 v[25:26], 2, v[28:29]
	v_add_nc_u32_e32 v28, 0x7d0, v24
	s_wait_alu 0xfffd
	v_add_co_ci_u32_e32 v15, vcc_lo, v1, v15, vcc_lo
	v_add_co_u32 v18, vcc_lo, v0, v18
	s_wait_alu 0xfffd
	v_add_co_ci_u32_e32 v19, vcc_lo, v1, v19, vcc_lo
	v_add_co_u32 v20, vcc_lo, v0, v20
	v_lshlrev_b64_e32 v[30:31], 2, v[28:29]
	v_add_nc_u32_e32 v28, 0x84d, v24
	s_wait_alu 0xfffd
	v_add_co_ci_u32_e32 v21, vcc_lo, v1, v21, vcc_lo
	v_add_co_u32 v25, vcc_lo, v0, v25
	s_wait_alu 0xfffd
	v_add_co_ci_u32_e32 v26, vcc_lo, v1, v26, vcc_lo
	s_wait_dscnt 0x3
	s_clause 0x1
	global_store_b32 v[6:7], v2, off
	global_store_b32 v[4:5], v3, off
	s_wait_dscnt 0x2
	s_clause 0x1
	global_store_b32 v[8:9], v10, off
	global_store_b32 v[12:13], v11, off
	;; [unrolled: 4-line block ×4, first 2 shown]
	v_lshlrev_b64_e32 v[4:5], 2, v[28:29]
	v_add_nc_u32_e32 v28, 0x8ca, v24
	v_add_nc_u32_e32 v27, 0x1e00, v32
	v_add_co_u32 v6, vcc_lo, v0, v30
	v_add_nc_u32_e32 v10, 0x2200, v32
	s_delay_alu instid0(VALU_DEP_4)
	v_lshlrev_b64_e32 v[8:9], 2, v[28:29]
	v_add_nc_u32_e32 v28, 0x947, v24
	s_wait_alu 0xfffd
	v_add_co_ci_u32_e32 v7, vcc_lo, v1, v31, vcc_lo
	v_add_nc_u32_e32 v16, 0x2600, v32
	ds_load_2addr_b32 v[2:3], v27 offset0:80 offset1:205
	v_lshlrev_b64_e32 v[12:13], 2, v[28:29]
	v_add_nc_u32_e32 v28, 0x9c4, v24
	v_add_co_u32 v4, vcc_lo, v0, v4
	v_add_nc_u32_e32 v22, 0x2a00, v32
	s_wait_alu 0xfffd
	v_add_co_ci_u32_e32 v5, vcc_lo, v1, v5, vcc_lo
	v_lshlrev_b64_e32 v[14:15], 2, v[28:29]
	v_add_nc_u32_e32 v28, 0xa41, v24
	ds_load_2addr_b32 v[10:11], v10 offset0:74 offset1:199
	v_add_co_u32 v8, vcc_lo, v0, v8
	ds_load_2addr_b32 v[16:17], v16 offset0:68 offset1:193
	v_lshlrev_b64_e32 v[18:19], 2, v[28:29]
	v_add_nc_u32_e32 v28, 0xabe, v24
	s_wait_alu 0xfffd
	v_add_co_ci_u32_e32 v9, vcc_lo, v1, v9, vcc_lo
	v_add_co_u32 v12, vcc_lo, v0, v12
	s_delay_alu instid0(VALU_DEP_3)
	v_lshlrev_b64_e32 v[20:21], 2, v[28:29]
	v_add_nc_u32_e32 v28, 0xb3b, v24
	ds_load_2addr_b32 v[22:23], v22 offset0:62 offset1:187
	s_wait_alu 0xfffd
	v_add_co_ci_u32_e32 v13, vcc_lo, v1, v13, vcc_lo
	v_add_co_u32 v14, vcc_lo, v0, v14
	v_lshlrev_b64_e32 v[25:26], 2, v[28:29]
	v_add_nc_u32_e32 v28, 0xbb8, v24
	s_wait_alu 0xfffd
	v_add_co_ci_u32_e32 v15, vcc_lo, v1, v15, vcc_lo
	v_add_co_u32 v18, vcc_lo, v0, v18
	s_wait_alu 0xfffd
	v_add_co_ci_u32_e32 v19, vcc_lo, v1, v19, vcc_lo
	v_add_co_u32 v20, vcc_lo, v0, v20
	v_lshlrev_b64_e32 v[30:31], 2, v[28:29]
	v_add_nc_u32_e32 v28, 0xc35, v24
	s_wait_alu 0xfffd
	v_add_co_ci_u32_e32 v21, vcc_lo, v1, v21, vcc_lo
	v_add_co_u32 v25, vcc_lo, v0, v25
	s_wait_alu 0xfffd
	v_add_co_ci_u32_e32 v26, vcc_lo, v1, v26, vcc_lo
	s_wait_dscnt 0x3
	s_clause 0x1
	global_store_b32 v[6:7], v2, off
	global_store_b32 v[4:5], v3, off
	s_wait_dscnt 0x2
	s_clause 0x1
	global_store_b32 v[8:9], v10, off
	global_store_b32 v[12:13], v11, off
	s_wait_dscnt 0x1
	s_clause 0x1
	global_store_b32 v[14:15], v16, off
	global_store_b32 v[18:19], v17, off
	s_wait_dscnt 0x0
	s_clause 0x1
	global_store_b32 v[20:21], v22, off
	global_store_b32 v[25:26], v23, off
	v_lshlrev_b64_e32 v[4:5], 2, v[28:29]
	v_add_nc_u32_e32 v28, 0xcb2, v24
	v_add_nc_u32_e32 v27, 0x2e00, v32
	v_add_co_u32 v6, vcc_lo, v0, v30
	v_add_nc_u32_e32 v10, 0x3200, v32
	s_delay_alu instid0(VALU_DEP_4)
	v_lshlrev_b64_e32 v[8:9], 2, v[28:29]
	v_add_nc_u32_e32 v28, 0xd2f, v24
	s_wait_alu 0xfffd
	v_add_co_ci_u32_e32 v7, vcc_lo, v1, v31, vcc_lo
	v_add_nc_u32_e32 v14, 0x3600, v32
	ds_load_2addr_b32 v[2:3], v27 offset0:56 offset1:181
	v_lshlrev_b64_e32 v[12:13], 2, v[28:29]
	v_add_nc_u32_e32 v28, 0xdac, v24
	v_add_co_u32 v4, vcc_lo, v0, v4
	s_wait_alu 0xfffd
	v_add_co_ci_u32_e32 v5, vcc_lo, v1, v5, vcc_lo
	s_delay_alu instid0(VALU_DEP_3)
	v_lshlrev_b64_e32 v[16:17], 2, v[28:29]
	v_add_nc_u32_e32 v28, 0xe29, v24
	ds_load_2addr_b32 v[10:11], v10 offset0:50 offset1:175
	v_add_co_u32 v8, vcc_lo, v0, v8
	ds_load_2addr_b32 v[14:15], v14 offset0:44 offset1:169
	s_wait_alu 0xfffd
	v_add_co_ci_u32_e32 v9, vcc_lo, v1, v9, vcc_lo
	v_add_co_u32 v12, vcc_lo, v0, v12
	v_lshlrev_b64_e32 v[18:19], 2, v[28:29]
	s_wait_alu 0xfffd
	v_add_co_ci_u32_e32 v13, vcc_lo, v1, v13, vcc_lo
	v_add_co_u32 v16, vcc_lo, v0, v16
	s_wait_alu 0xfffd
	v_add_co_ci_u32_e32 v17, vcc_lo, v1, v17, vcc_lo
	v_add_co_u32 v18, vcc_lo, v0, v18
	s_wait_alu 0xfffd
	v_add_co_ci_u32_e32 v19, vcc_lo, v1, v19, vcc_lo
	v_cmp_eq_u32_e32 vcc_lo, 0x7c, v24
	s_wait_dscnt 0x2
	s_clause 0x1
	global_store_b32 v[6:7], v2, off
	global_store_b32 v[4:5], v3, off
	s_wait_dscnt 0x1
	s_clause 0x1
	global_store_b32 v[8:9], v10, off
	global_store_b32 v[12:13], v11, off
	;; [unrolled: 4-line block ×3, first 2 shown]
	s_and_b32 exec_lo, exec_lo, vcc_lo
	s_cbranch_execz .LBB0_20
; %bb.19:
	v_mov_b32_e32 v2, 0
	ds_load_b32 v2, v2 offset:15000
	s_wait_dscnt 0x0
	global_store_b32 v[0:1], v2, off offset:15000
.LBB0_20:
	s_nop 0
	s_sendmsg sendmsg(MSG_DEALLOC_VGPRS)
	s_endpgm
	.section	.rodata,"a",@progbits
	.p2align	6, 0x0
	.amdhsa_kernel fft_rtc_fwd_len3750_factors_3_5_5_10_5_wgs_125_tpt_125_halfLds_half_op_CI_CI_unitstride_sbrr_R2C_dirReg
		.amdhsa_group_segment_fixed_size 0
		.amdhsa_private_segment_fixed_size 0
		.amdhsa_kernarg_size 104
		.amdhsa_user_sgpr_count 2
		.amdhsa_user_sgpr_dispatch_ptr 0
		.amdhsa_user_sgpr_queue_ptr 0
		.amdhsa_user_sgpr_kernarg_segment_ptr 1
		.amdhsa_user_sgpr_dispatch_id 0
		.amdhsa_user_sgpr_private_segment_size 0
		.amdhsa_wavefront_size32 1
		.amdhsa_uses_dynamic_stack 0
		.amdhsa_enable_private_segment 0
		.amdhsa_system_sgpr_workgroup_id_x 1
		.amdhsa_system_sgpr_workgroup_id_y 0
		.amdhsa_system_sgpr_workgroup_id_z 0
		.amdhsa_system_sgpr_workgroup_info 0
		.amdhsa_system_vgpr_workitem_id 0
		.amdhsa_next_free_vgpr 139
		.amdhsa_next_free_sgpr 39
		.amdhsa_reserve_vcc 1
		.amdhsa_float_round_mode_32 0
		.amdhsa_float_round_mode_16_64 0
		.amdhsa_float_denorm_mode_32 3
		.amdhsa_float_denorm_mode_16_64 3
		.amdhsa_fp16_overflow 0
		.amdhsa_workgroup_processor_mode 1
		.amdhsa_memory_ordered 1
		.amdhsa_forward_progress 0
		.amdhsa_round_robin_scheduling 0
		.amdhsa_exception_fp_ieee_invalid_op 0
		.amdhsa_exception_fp_denorm_src 0
		.amdhsa_exception_fp_ieee_div_zero 0
		.amdhsa_exception_fp_ieee_overflow 0
		.amdhsa_exception_fp_ieee_underflow 0
		.amdhsa_exception_fp_ieee_inexact 0
		.amdhsa_exception_int_div_zero 0
	.end_amdhsa_kernel
	.text
.Lfunc_end0:
	.size	fft_rtc_fwd_len3750_factors_3_5_5_10_5_wgs_125_tpt_125_halfLds_half_op_CI_CI_unitstride_sbrr_R2C_dirReg, .Lfunc_end0-fft_rtc_fwd_len3750_factors_3_5_5_10_5_wgs_125_tpt_125_halfLds_half_op_CI_CI_unitstride_sbrr_R2C_dirReg
                                        ; -- End function
	.section	.AMDGPU.csdata,"",@progbits
; Kernel info:
; codeLenInByte = 25820
; NumSgprs: 41
; NumVgprs: 139
; ScratchSize: 0
; MemoryBound: 0
; FloatMode: 240
; IeeeMode: 1
; LDSByteSize: 0 bytes/workgroup (compile time only)
; SGPRBlocks: 5
; VGPRBlocks: 17
; NumSGPRsForWavesPerEU: 41
; NumVGPRsForWavesPerEU: 139
; Occupancy: 10
; WaveLimiterHint : 1
; COMPUTE_PGM_RSRC2:SCRATCH_EN: 0
; COMPUTE_PGM_RSRC2:USER_SGPR: 2
; COMPUTE_PGM_RSRC2:TRAP_HANDLER: 0
; COMPUTE_PGM_RSRC2:TGID_X_EN: 1
; COMPUTE_PGM_RSRC2:TGID_Y_EN: 0
; COMPUTE_PGM_RSRC2:TGID_Z_EN: 0
; COMPUTE_PGM_RSRC2:TIDIG_COMP_CNT: 0
	.text
	.p2alignl 7, 3214868480
	.fill 96, 4, 3214868480
	.type	__hip_cuid_4165a2347f478f48,@object ; @__hip_cuid_4165a2347f478f48
	.section	.bss,"aw",@nobits
	.globl	__hip_cuid_4165a2347f478f48
__hip_cuid_4165a2347f478f48:
	.byte	0                               ; 0x0
	.size	__hip_cuid_4165a2347f478f48, 1

	.ident	"AMD clang version 19.0.0git (https://github.com/RadeonOpenCompute/llvm-project roc-6.4.0 25133 c7fe45cf4b819c5991fe208aaa96edf142730f1d)"
	.section	".note.GNU-stack","",@progbits
	.addrsig
	.addrsig_sym __hip_cuid_4165a2347f478f48
	.amdgpu_metadata
---
amdhsa.kernels:
  - .args:
      - .actual_access:  read_only
        .address_space:  global
        .offset:         0
        .size:           8
        .value_kind:     global_buffer
      - .offset:         8
        .size:           8
        .value_kind:     by_value
      - .actual_access:  read_only
        .address_space:  global
        .offset:         16
        .size:           8
        .value_kind:     global_buffer
      - .actual_access:  read_only
        .address_space:  global
        .offset:         24
        .size:           8
        .value_kind:     global_buffer
      - .actual_access:  read_only
        .address_space:  global
        .offset:         32
        .size:           8
        .value_kind:     global_buffer
      - .offset:         40
        .size:           8
        .value_kind:     by_value
      - .actual_access:  read_only
        .address_space:  global
        .offset:         48
        .size:           8
        .value_kind:     global_buffer
      - .actual_access:  read_only
        .address_space:  global
        .offset:         56
        .size:           8
        .value_kind:     global_buffer
      - .offset:         64
        .size:           4
        .value_kind:     by_value
      - .actual_access:  read_only
        .address_space:  global
        .offset:         72
        .size:           8
        .value_kind:     global_buffer
      - .actual_access:  read_only
        .address_space:  global
        .offset:         80
        .size:           8
        .value_kind:     global_buffer
      - .actual_access:  read_only
        .address_space:  global
        .offset:         88
        .size:           8
        .value_kind:     global_buffer
      - .actual_access:  write_only
        .address_space:  global
        .offset:         96
        .size:           8
        .value_kind:     global_buffer
    .group_segment_fixed_size: 0
    .kernarg_segment_align: 8
    .kernarg_segment_size: 104
    .language:       OpenCL C
    .language_version:
      - 2
      - 0
    .max_flat_workgroup_size: 125
    .name:           fft_rtc_fwd_len3750_factors_3_5_5_10_5_wgs_125_tpt_125_halfLds_half_op_CI_CI_unitstride_sbrr_R2C_dirReg
    .private_segment_fixed_size: 0
    .sgpr_count:     41
    .sgpr_spill_count: 0
    .symbol:         fft_rtc_fwd_len3750_factors_3_5_5_10_5_wgs_125_tpt_125_halfLds_half_op_CI_CI_unitstride_sbrr_R2C_dirReg.kd
    .uniform_work_group_size: 1
    .uses_dynamic_stack: false
    .vgpr_count:     139
    .vgpr_spill_count: 0
    .wavefront_size: 32
    .workgroup_processor_mode: 1
amdhsa.target:   amdgcn-amd-amdhsa--gfx1201
amdhsa.version:
  - 1
  - 2
...

	.end_amdgpu_metadata
